;; amdgpu-corpus repo=ROCm/rocFFT kind=compiled arch=gfx1100 opt=O3
	.text
	.amdgcn_target "amdgcn-amd-amdhsa--gfx1100"
	.amdhsa_code_object_version 6
	.protected	fft_rtc_back_len1496_factors_17_8_11_wgs_187_tpt_187_halfLds_dp_op_CI_CI_unitstride_sbrr_R2C_dirReg ; -- Begin function fft_rtc_back_len1496_factors_17_8_11_wgs_187_tpt_187_halfLds_dp_op_CI_CI_unitstride_sbrr_R2C_dirReg
	.globl	fft_rtc_back_len1496_factors_17_8_11_wgs_187_tpt_187_halfLds_dp_op_CI_CI_unitstride_sbrr_R2C_dirReg
	.p2align	8
	.type	fft_rtc_back_len1496_factors_17_8_11_wgs_187_tpt_187_halfLds_dp_op_CI_CI_unitstride_sbrr_R2C_dirReg,@function
fft_rtc_back_len1496_factors_17_8_11_wgs_187_tpt_187_halfLds_dp_op_CI_CI_unitstride_sbrr_R2C_dirReg: ; @fft_rtc_back_len1496_factors_17_8_11_wgs_187_tpt_187_halfLds_dp_op_CI_CI_unitstride_sbrr_R2C_dirReg
; %bb.0:
	s_clause 0x2
	s_load_b128 s[8:11], s[0:1], 0x0
	s_load_b128 s[4:7], s[0:1], 0x58
	;; [unrolled: 1-line block ×3, first 2 shown]
	v_mul_u32_u24_e32 v1, 0x15f, v0
	v_mov_b32_e32 v3, 0
	s_delay_alu instid0(VALU_DEP_2) | instskip(NEXT) | instid1(VALU_DEP_1)
	v_lshrrev_b32_e32 v1, 16, v1
	v_add_nc_u32_e32 v5, s15, v1
	v_mov_b32_e32 v1, 0
	v_mov_b32_e32 v2, 0
	;; [unrolled: 1-line block ×3, first 2 shown]
	s_waitcnt lgkmcnt(0)
	v_cmp_lt_u64_e64 s2, s[10:11], 2
	s_delay_alu instid0(VALU_DEP_1)
	s_and_b32 vcc_lo, exec_lo, s2
	s_cbranch_vccnz .LBB0_8
; %bb.1:
	s_load_b64 s[2:3], s[0:1], 0x10
	v_mov_b32_e32 v1, 0
	v_mov_b32_e32 v2, 0
	s_add_u32 s12, s18, 8
	s_addc_u32 s13, s19, 0
	s_add_u32 s14, s16, 8
	s_addc_u32 s15, s17, 0
	v_dual_mov_b32 v81, v2 :: v_dual_mov_b32 v80, v1
	s_mov_b64 s[22:23], 1
	s_waitcnt lgkmcnt(0)
	s_add_u32 s20, s2, 8
	s_addc_u32 s21, s3, 0
.LBB0_2:                                ; =>This Inner Loop Header: Depth=1
	s_load_b64 s[24:25], s[20:21], 0x0
                                        ; implicit-def: $vgpr82_vgpr83
	s_mov_b32 s2, exec_lo
	s_waitcnt lgkmcnt(0)
	v_or_b32_e32 v4, s25, v6
	s_delay_alu instid0(VALU_DEP_1)
	v_cmpx_ne_u64_e32 0, v[3:4]
	s_xor_b32 s3, exec_lo, s2
	s_cbranch_execz .LBB0_4
; %bb.3:                                ;   in Loop: Header=BB0_2 Depth=1
	v_cvt_f32_u32_e32 v4, s24
	v_cvt_f32_u32_e32 v7, s25
	s_sub_u32 s2, 0, s24
	s_subb_u32 s26, 0, s25
	s_delay_alu instid0(VALU_DEP_1) | instskip(NEXT) | instid1(VALU_DEP_1)
	v_fmac_f32_e32 v4, 0x4f800000, v7
	v_rcp_f32_e32 v4, v4
	s_waitcnt_depctr 0xfff
	v_mul_f32_e32 v4, 0x5f7ffffc, v4
	s_delay_alu instid0(VALU_DEP_1) | instskip(NEXT) | instid1(VALU_DEP_1)
	v_mul_f32_e32 v7, 0x2f800000, v4
	v_trunc_f32_e32 v7, v7
	s_delay_alu instid0(VALU_DEP_1) | instskip(SKIP_1) | instid1(VALU_DEP_2)
	v_fmac_f32_e32 v4, 0xcf800000, v7
	v_cvt_u32_f32_e32 v7, v7
	v_cvt_u32_f32_e32 v4, v4
	s_delay_alu instid0(VALU_DEP_2) | instskip(NEXT) | instid1(VALU_DEP_2)
	v_mul_lo_u32 v8, s2, v7
	v_mul_hi_u32 v9, s2, v4
	v_mul_lo_u32 v10, s26, v4
	s_delay_alu instid0(VALU_DEP_2) | instskip(SKIP_1) | instid1(VALU_DEP_2)
	v_add_nc_u32_e32 v8, v9, v8
	v_mul_lo_u32 v9, s2, v4
	v_add_nc_u32_e32 v8, v8, v10
	s_delay_alu instid0(VALU_DEP_2) | instskip(NEXT) | instid1(VALU_DEP_2)
	v_mul_hi_u32 v10, v4, v9
	v_mul_lo_u32 v11, v4, v8
	v_mul_hi_u32 v12, v4, v8
	v_mul_hi_u32 v13, v7, v9
	v_mul_lo_u32 v9, v7, v9
	v_mul_hi_u32 v14, v7, v8
	v_mul_lo_u32 v8, v7, v8
	v_add_co_u32 v10, vcc_lo, v10, v11
	v_add_co_ci_u32_e32 v11, vcc_lo, 0, v12, vcc_lo
	s_delay_alu instid0(VALU_DEP_2) | instskip(NEXT) | instid1(VALU_DEP_2)
	v_add_co_u32 v9, vcc_lo, v10, v9
	v_add_co_ci_u32_e32 v9, vcc_lo, v11, v13, vcc_lo
	v_add_co_ci_u32_e32 v10, vcc_lo, 0, v14, vcc_lo
	s_delay_alu instid0(VALU_DEP_2) | instskip(NEXT) | instid1(VALU_DEP_2)
	v_add_co_u32 v8, vcc_lo, v9, v8
	v_add_co_ci_u32_e32 v9, vcc_lo, 0, v10, vcc_lo
	s_delay_alu instid0(VALU_DEP_2) | instskip(NEXT) | instid1(VALU_DEP_2)
	v_add_co_u32 v4, vcc_lo, v4, v8
	v_add_co_ci_u32_e32 v7, vcc_lo, v7, v9, vcc_lo
	s_delay_alu instid0(VALU_DEP_2) | instskip(SKIP_1) | instid1(VALU_DEP_3)
	v_mul_hi_u32 v8, s2, v4
	v_mul_lo_u32 v10, s26, v4
	v_mul_lo_u32 v9, s2, v7
	s_delay_alu instid0(VALU_DEP_1) | instskip(SKIP_1) | instid1(VALU_DEP_2)
	v_add_nc_u32_e32 v8, v8, v9
	v_mul_lo_u32 v9, s2, v4
	v_add_nc_u32_e32 v8, v8, v10
	s_delay_alu instid0(VALU_DEP_2) | instskip(NEXT) | instid1(VALU_DEP_2)
	v_mul_hi_u32 v10, v4, v9
	v_mul_lo_u32 v11, v4, v8
	v_mul_hi_u32 v12, v4, v8
	v_mul_hi_u32 v13, v7, v9
	v_mul_lo_u32 v9, v7, v9
	v_mul_hi_u32 v14, v7, v8
	v_mul_lo_u32 v8, v7, v8
	v_add_co_u32 v10, vcc_lo, v10, v11
	v_add_co_ci_u32_e32 v11, vcc_lo, 0, v12, vcc_lo
	s_delay_alu instid0(VALU_DEP_2) | instskip(NEXT) | instid1(VALU_DEP_2)
	v_add_co_u32 v9, vcc_lo, v10, v9
	v_add_co_ci_u32_e32 v9, vcc_lo, v11, v13, vcc_lo
	v_add_co_ci_u32_e32 v10, vcc_lo, 0, v14, vcc_lo
	s_delay_alu instid0(VALU_DEP_2) | instskip(NEXT) | instid1(VALU_DEP_2)
	v_add_co_u32 v8, vcc_lo, v9, v8
	v_add_co_ci_u32_e32 v9, vcc_lo, 0, v10, vcc_lo
	s_delay_alu instid0(VALU_DEP_2) | instskip(NEXT) | instid1(VALU_DEP_2)
	v_add_co_u32 v4, vcc_lo, v4, v8
	v_add_co_ci_u32_e32 v13, vcc_lo, v7, v9, vcc_lo
	s_delay_alu instid0(VALU_DEP_2) | instskip(SKIP_1) | instid1(VALU_DEP_3)
	v_mul_hi_u32 v14, v5, v4
	v_mad_u64_u32 v[9:10], null, v6, v4, 0
	v_mad_u64_u32 v[7:8], null, v5, v13, 0
	;; [unrolled: 1-line block ×3, first 2 shown]
	s_delay_alu instid0(VALU_DEP_2) | instskip(NEXT) | instid1(VALU_DEP_3)
	v_add_co_u32 v4, vcc_lo, v14, v7
	v_add_co_ci_u32_e32 v7, vcc_lo, 0, v8, vcc_lo
	s_delay_alu instid0(VALU_DEP_2) | instskip(NEXT) | instid1(VALU_DEP_2)
	v_add_co_u32 v4, vcc_lo, v4, v9
	v_add_co_ci_u32_e32 v4, vcc_lo, v7, v10, vcc_lo
	v_add_co_ci_u32_e32 v7, vcc_lo, 0, v12, vcc_lo
	s_delay_alu instid0(VALU_DEP_2) | instskip(NEXT) | instid1(VALU_DEP_2)
	v_add_co_u32 v4, vcc_lo, v4, v11
	v_add_co_ci_u32_e32 v9, vcc_lo, 0, v7, vcc_lo
	s_delay_alu instid0(VALU_DEP_2) | instskip(SKIP_1) | instid1(VALU_DEP_3)
	v_mul_lo_u32 v10, s25, v4
	v_mad_u64_u32 v[7:8], null, s24, v4, 0
	v_mul_lo_u32 v11, s24, v9
	s_delay_alu instid0(VALU_DEP_2) | instskip(NEXT) | instid1(VALU_DEP_2)
	v_sub_co_u32 v7, vcc_lo, v5, v7
	v_add3_u32 v8, v8, v11, v10
	s_delay_alu instid0(VALU_DEP_1) | instskip(NEXT) | instid1(VALU_DEP_1)
	v_sub_nc_u32_e32 v10, v6, v8
	v_subrev_co_ci_u32_e64 v10, s2, s25, v10, vcc_lo
	v_add_co_u32 v11, s2, v4, 2
	s_delay_alu instid0(VALU_DEP_1) | instskip(SKIP_3) | instid1(VALU_DEP_3)
	v_add_co_ci_u32_e64 v12, s2, 0, v9, s2
	v_sub_co_u32 v13, s2, v7, s24
	v_sub_co_ci_u32_e32 v8, vcc_lo, v6, v8, vcc_lo
	v_subrev_co_ci_u32_e64 v10, s2, 0, v10, s2
	v_cmp_le_u32_e32 vcc_lo, s24, v13
	s_delay_alu instid0(VALU_DEP_3) | instskip(SKIP_1) | instid1(VALU_DEP_4)
	v_cmp_eq_u32_e64 s2, s25, v8
	v_cndmask_b32_e64 v13, 0, -1, vcc_lo
	v_cmp_le_u32_e32 vcc_lo, s25, v10
	v_cndmask_b32_e64 v14, 0, -1, vcc_lo
	v_cmp_le_u32_e32 vcc_lo, s24, v7
	;; [unrolled: 2-line block ×3, first 2 shown]
	v_cndmask_b32_e64 v15, 0, -1, vcc_lo
	v_cmp_eq_u32_e32 vcc_lo, s25, v10
	s_delay_alu instid0(VALU_DEP_2) | instskip(SKIP_3) | instid1(VALU_DEP_3)
	v_cndmask_b32_e64 v7, v15, v7, s2
	v_cndmask_b32_e32 v10, v14, v13, vcc_lo
	v_add_co_u32 v13, vcc_lo, v4, 1
	v_add_co_ci_u32_e32 v14, vcc_lo, 0, v9, vcc_lo
	v_cmp_ne_u32_e32 vcc_lo, 0, v10
	s_delay_alu instid0(VALU_DEP_2) | instskip(NEXT) | instid1(VALU_DEP_4)
	v_cndmask_b32_e32 v8, v14, v12, vcc_lo
	v_cndmask_b32_e32 v10, v13, v11, vcc_lo
	v_cmp_ne_u32_e32 vcc_lo, 0, v7
	s_delay_alu instid0(VALU_DEP_2)
	v_dual_cndmask_b32 v83, v9, v8 :: v_dual_cndmask_b32 v82, v4, v10
.LBB0_4:                                ;   in Loop: Header=BB0_2 Depth=1
	s_and_not1_saveexec_b32 s2, s3
	s_cbranch_execz .LBB0_6
; %bb.5:                                ;   in Loop: Header=BB0_2 Depth=1
	v_cvt_f32_u32_e32 v4, s24
	s_sub_i32 s3, 0, s24
	v_mov_b32_e32 v83, v3
	s_delay_alu instid0(VALU_DEP_2) | instskip(SKIP_2) | instid1(VALU_DEP_1)
	v_rcp_iflag_f32_e32 v4, v4
	s_waitcnt_depctr 0xfff
	v_mul_f32_e32 v4, 0x4f7ffffe, v4
	v_cvt_u32_f32_e32 v4, v4
	s_delay_alu instid0(VALU_DEP_1) | instskip(NEXT) | instid1(VALU_DEP_1)
	v_mul_lo_u32 v7, s3, v4
	v_mul_hi_u32 v7, v4, v7
	s_delay_alu instid0(VALU_DEP_1) | instskip(NEXT) | instid1(VALU_DEP_1)
	v_add_nc_u32_e32 v4, v4, v7
	v_mul_hi_u32 v4, v5, v4
	s_delay_alu instid0(VALU_DEP_1) | instskip(SKIP_1) | instid1(VALU_DEP_2)
	v_mul_lo_u32 v7, v4, s24
	v_add_nc_u32_e32 v8, 1, v4
	v_sub_nc_u32_e32 v7, v5, v7
	s_delay_alu instid0(VALU_DEP_1) | instskip(SKIP_1) | instid1(VALU_DEP_2)
	v_subrev_nc_u32_e32 v9, s24, v7
	v_cmp_le_u32_e32 vcc_lo, s24, v7
	v_dual_cndmask_b32 v7, v7, v9 :: v_dual_cndmask_b32 v4, v4, v8
	s_delay_alu instid0(VALU_DEP_1) | instskip(NEXT) | instid1(VALU_DEP_2)
	v_cmp_le_u32_e32 vcc_lo, s24, v7
	v_add_nc_u32_e32 v8, 1, v4
	s_delay_alu instid0(VALU_DEP_1)
	v_cndmask_b32_e32 v82, v4, v8, vcc_lo
.LBB0_6:                                ;   in Loop: Header=BB0_2 Depth=1
	s_or_b32 exec_lo, exec_lo, s2
	s_delay_alu instid0(VALU_DEP_1) | instskip(NEXT) | instid1(VALU_DEP_2)
	v_mul_lo_u32 v4, v83, s24
	v_mul_lo_u32 v9, v82, s25
	s_load_b64 s[2:3], s[14:15], 0x0
	v_mad_u64_u32 v[7:8], null, v82, s24, 0
	s_load_b64 s[24:25], s[12:13], 0x0
	s_add_u32 s22, s22, 1
	s_addc_u32 s23, s23, 0
	s_add_u32 s12, s12, 8
	s_addc_u32 s13, s13, 0
	s_add_u32 s14, s14, 8
	s_delay_alu instid0(VALU_DEP_1) | instskip(SKIP_3) | instid1(VALU_DEP_2)
	v_add3_u32 v4, v8, v9, v4
	v_sub_co_u32 v8, vcc_lo, v5, v7
	s_addc_u32 s15, s15, 0
	s_add_u32 s20, s20, 8
	v_sub_co_ci_u32_e32 v6, vcc_lo, v6, v4, vcc_lo
	s_addc_u32 s21, s21, 0
	s_waitcnt lgkmcnt(0)
	s_delay_alu instid0(VALU_DEP_1)
	v_mul_lo_u32 v9, s2, v6
	v_mul_lo_u32 v10, s3, v8
	v_mad_u64_u32 v[4:5], null, s2, v8, v[1:2]
	v_mul_lo_u32 v11, s24, v6
	v_mul_lo_u32 v12, s25, v8
	v_mad_u64_u32 v[6:7], null, s24, v8, v[80:81]
	v_cmp_ge_u64_e64 s2, s[22:23], s[10:11]
	v_add3_u32 v2, v10, v5, v9
	s_delay_alu instid0(VALU_DEP_3) | instskip(NEXT) | instid1(VALU_DEP_4)
	v_dual_mov_b32 v1, v4 :: v_dual_mov_b32 v80, v6
	v_add3_u32 v81, v12, v7, v11
	s_delay_alu instid0(VALU_DEP_4)
	s_and_b32 vcc_lo, exec_lo, s2
	s_cbranch_vccnz .LBB0_9
; %bb.7:                                ;   in Loop: Header=BB0_2 Depth=1
	v_dual_mov_b32 v5, v82 :: v_dual_mov_b32 v6, v83
	s_branch .LBB0_2
.LBB0_8:
	v_dual_mov_b32 v81, v2 :: v_dual_mov_b32 v80, v1
	v_dual_mov_b32 v83, v6 :: v_dual_mov_b32 v82, v5
.LBB0_9:
	s_load_b64 s[0:1], s[0:1], 0x28
	v_mul_hi_u32 v3, 0x15e75bc, v0
	s_lshl_b64 s[10:11], s[10:11], 3
                                        ; implicit-def: $vgpr84
	s_delay_alu instid0(SALU_CYCLE_1) | instskip(SKIP_4) | instid1(VALU_DEP_1)
	s_add_u32 s2, s18, s10
	s_addc_u32 s3, s19, s11
	s_waitcnt lgkmcnt(0)
	v_cmp_gt_u64_e32 vcc_lo, s[0:1], v[82:83]
	v_cmp_le_u64_e64 s0, s[0:1], v[82:83]
	s_and_saveexec_b32 s1, s0
	s_delay_alu instid0(SALU_CYCLE_1)
	s_xor_b32 s0, exec_lo, s1
; %bb.10:
	v_mul_u32_u24_e32 v1, 0xbb, v3
                                        ; implicit-def: $vgpr3
	s_delay_alu instid0(VALU_DEP_1)
	v_sub_nc_u32_e32 v84, v0, v1
                                        ; implicit-def: $vgpr0
                                        ; implicit-def: $vgpr1_vgpr2
; %bb.11:
	s_and_not1_saveexec_b32 s1, s0
	s_cbranch_execz .LBB0_13
; %bb.12:
	s_add_u32 s10, s16, s10
	s_addc_u32 s11, s17, s11
	v_lshlrev_b64 v[1:2], 4, v[1:2]
	s_load_b64 s[10:11], s[10:11], 0x0
	s_waitcnt lgkmcnt(0)
	v_mul_lo_u32 v6, s11, v82
	v_mul_lo_u32 v7, s10, v83
	v_mad_u64_u32 v[4:5], null, s10, v82, 0
	s_delay_alu instid0(VALU_DEP_1) | instskip(SKIP_1) | instid1(VALU_DEP_2)
	v_add3_u32 v5, v5, v7, v6
	v_mul_u32_u24_e32 v6, 0xbb, v3
	v_lshlrev_b64 v[3:4], 4, v[4:5]
	s_delay_alu instid0(VALU_DEP_2) | instskip(NEXT) | instid1(VALU_DEP_1)
	v_sub_nc_u32_e32 v84, v0, v6
	v_lshlrev_b32_e32 v32, 4, v84
	s_delay_alu instid0(VALU_DEP_3) | instskip(NEXT) | instid1(VALU_DEP_1)
	v_add_co_u32 v0, s0, s4, v3
	v_add_co_ci_u32_e64 v3, s0, s5, v4, s0
	s_delay_alu instid0(VALU_DEP_2) | instskip(NEXT) | instid1(VALU_DEP_1)
	v_add_co_u32 v0, s0, v0, v1
	v_add_co_ci_u32_e64 v1, s0, v3, v2, s0
	s_delay_alu instid0(VALU_DEP_2) | instskip(NEXT) | instid1(VALU_DEP_1)
	v_add_co_u32 v8, s0, v0, v32
	v_add_co_ci_u32_e64 v9, s0, 0, v1, s0
	s_clause 0x1
	global_load_b128 v[0:3], v[8:9], off
	global_load_b128 v[4:7], v[8:9], off offset:2992
	v_add_co_u32 v10, s0, 0x1000, v8
	s_delay_alu instid0(VALU_DEP_1) | instskip(SKIP_1) | instid1(VALU_DEP_1)
	v_add_co_ci_u32_e64 v11, s0, 0, v9, s0
	v_add_co_u32 v16, s0, 0x2000, v8
	v_add_co_ci_u32_e64 v17, s0, 0, v9, s0
	v_add_co_u32 v20, s0, 0x3000, v8
	s_delay_alu instid0(VALU_DEP_1) | instskip(SKIP_1) | instid1(VALU_DEP_1)
	v_add_co_ci_u32_e64 v21, s0, 0, v9, s0
	v_add_co_u32 v24, s0, 0x4000, v8
	v_add_co_ci_u32_e64 v25, s0, 0, v9, s0
	v_add_co_u32 v28, s0, 0x5000, v8
	s_delay_alu instid0(VALU_DEP_1)
	v_add_co_ci_u32_e64 v29, s0, 0, v9, s0
	s_clause 0x5
	global_load_b128 v[8:11], v[10:11], off offset:1888
	global_load_b128 v[12:15], v[16:17], off offset:784
	;; [unrolled: 1-line block ×6, first 2 shown]
	v_add_nc_u32_e32 v32, 0, v32
	s_waitcnt vmcnt(7)
	ds_store_b128 v32, v[0:3]
	s_waitcnt vmcnt(6)
	ds_store_b128 v32, v[4:7] offset:2992
	s_waitcnt vmcnt(5)
	ds_store_b128 v32, v[8:11] offset:5984
	;; [unrolled: 2-line block ×7, first 2 shown]
.LBB0_13:
	s_or_b32 exec_lo, exec_lo, s1
	s_delay_alu instid0(VALU_DEP_1)
	v_lshl_add_u32 v181, v84, 4, 0
	s_waitcnt lgkmcnt(0)
	s_barrier
	buffer_gl0_inv
	s_mov_b32 s10, 0x4363dd80
	ds_load_b128 v[12:15], v181 offset:22528
	ds_load_b128 v[28:31], v181 offset:1408
	ds_load_b128 v[16:19], v181
	ds_load_b128 v[20:23], v181 offset:21120
	ds_load_b128 v[32:35], v181 offset:2816
	s_mov_b32 s4, 0x910ea3b9
	s_mov_b32 s14, 0xacd6c6b4
	;; [unrolled: 1-line block ×7, first 2 shown]
	ds_load_b128 v[40:43], v181 offset:4224
	ds_load_b128 v[24:27], v181 offset:19712
	s_mov_b32 s42, 0x7c9e640b
	s_mov_b32 s16, 0x2b2883cd
	;; [unrolled: 1-line block ×9, first 2 shown]
	s_waitcnt lgkmcnt(5)
	v_add_f64 v[141:142], v[30:31], -v[14:15]
	v_add_f64 v[143:144], v[30:31], v[14:15]
	s_waitcnt lgkmcnt(2)
	v_add_f64 v[87:88], v[34:35], -v[22:23]
	v_add_f64 v[85:86], v[34:35], v[22:23]
	v_add_f64 v[145:146], v[28:29], v[12:13]
	v_add_f64 v[147:148], v[28:29], -v[12:13]
	s_mov_b32 s38, s14
	v_add_f64 v[91:92], v[32:33], v[20:21]
	v_add_f64 v[95:96], v[32:33], -v[20:21]
	ds_load_b128 v[36:39], v181 offset:18304
	ds_load_b128 v[52:55], v181 offset:5632
	s_waitcnt lgkmcnt(2)
	v_add_f64 v[93:94], v[42:43], -v[26:27]
	v_add_f64 v[89:90], v[42:43], v[26:27]
	s_mov_b32 s24, 0xeb564b22
	s_mov_b32 s20, 0x3259b75e
	;; [unrolled: 1-line block ×6, first 2 shown]
	v_add_f64 v[97:98], v[40:41], v[24:25]
	v_add_f64 v[107:108], v[40:41], -v[24:25]
	ds_load_b128 v[56:59], v181 offset:7040
	ds_load_b128 v[44:47], v181 offset:16896
	s_mov_b32 s48, 0x6c9a05f6
	s_mov_b32 s22, 0x6ed5f1bb
	;; [unrolled: 1-line block ×8, first 2 shown]
	s_waitcnt lgkmcnt(2)
	v_add_f64 v[105:106], v[54:55], -v[38:39]
	v_add_f64 v[99:100], v[54:55], v[38:39]
	s_mov_b32 s53, 0x3fe0d888
	s_mov_b32 s52, s10
	v_add_f64 v[101:102], v[52:53], v[36:37]
	v_add_f64 v[115:116], v[52:53], -v[36:37]
	s_mov_b32 s35, 0xbfe58eea
	s_mov_b32 s29, 0xbfe9895b
	v_mul_f64 v[149:150], v[141:142], s[10:11]
	v_mul_f64 v[151:152], v[143:144], s[4:5]
	;; [unrolled: 1-line block ×8, first 2 shown]
	s_waitcnt lgkmcnt(0)
	v_add_f64 v[113:114], v[58:59], -v[46:47]
	v_add_f64 v[103:104], v[58:59], v[46:47]
	s_mov_b32 s34, s46
	v_mul_f64 v[157:158], v[93:94], s[24:25]
	v_mul_f64 v[159:160], v[89:90], s[20:21]
	;; [unrolled: 1-line block ×4, first 2 shown]
	s_mov_b32 s28, s48
	v_add_f64 v[109:110], v[56:57], v[44:45]
	v_add_f64 v[123:124], v[56:57], -v[44:45]
	s_mov_b32 s40, 0x923c349f
	s_mov_b32 s36, 0xc61f0d01
	;; [unrolled: 1-line block ×10, first 2 shown]
	s_mov_b32 s1, exec_lo
	v_mul_f64 v[161:162], v[105:106], s[48:49]
	v_mul_f64 v[163:164], v[99:100], s[22:23]
	;; [unrolled: 1-line block ×4, first 2 shown]
	v_fma_f64 v[8:9], v[145:146], s[4:5], -v[149:150]
	v_fma_f64 v[10:11], v[147:148], s[10:11], v[151:152]
	v_fma_f64 v[48:49], v[145:146], s[12:13], v[0:1]
	v_fma_f64 v[50:51], v[147:148], s[38:39], v[2:3]
	v_fma_f64 v[0:1], v[145:146], s[12:13], -v[0:1]
	v_fma_f64 v[2:3], v[147:148], s[14:15], v[2:3]
	v_fma_f64 v[64:65], v[91:92], s[16:17], -v[153:154]
	v_fma_f64 v[66:67], v[95:96], s[42:43], v[155:156]
	v_fma_f64 v[68:69], v[91:92], s[18:19], v[4:5]
	v_fma_f64 v[70:71], v[95:96], s[50:51], v[6:7]
	v_fma_f64 v[4:5], v[91:92], s[18:19], -v[4:5]
	v_fma_f64 v[6:7], v[95:96], s[30:31], v[6:7]
	v_fma_f64 v[117:118], v[97:98], s[20:21], -v[157:158]
	v_fma_f64 v[119:120], v[107:108], s[24:25], v[159:160]
	v_fma_f64 v[125:126], v[97:98], s[4:5], v[60:61]
	v_fma_f64 v[127:128], v[107:108], s[52:53], v[62:63]
	v_fma_f64 v[129:130], v[97:98], s[4:5], -v[60:61]
	v_fma_f64 v[131:132], v[107:108], s[10:11], v[62:63]
	v_mul_f64 v[165:166], v[113:114], s[50:51]
	v_mul_f64 v[169:170], v[103:104], s[18:19]
	v_fma_f64 v[133:134], v[101:102], s[22:23], -v[161:162]
	v_fma_f64 v[135:136], v[115:116], s[48:49], v[163:164]
	v_fma_f64 v[137:138], v[101:102], s[26:27], v[76:77]
	;; [unrolled: 1-line block ×3, first 2 shown]
	v_fma_f64 v[76:77], v[101:102], s[26:27], -v[76:77]
	v_fma_f64 v[78:79], v[115:116], s[46:47], v[78:79]
	v_add_f64 v[8:9], v[16:17], v[8:9]
	v_add_f64 v[10:11], v[18:19], v[10:11]
	v_add_f64 v[72:73], v[16:17], v[48:49]
	v_add_f64 v[74:75], v[18:19], v[50:51]
	v_add_f64 v[0:1], v[16:17], v[0:1]
	v_add_f64 v[2:3], v[18:19], v[2:3]
	ds_load_b128 v[48:51], v181 offset:15488
	v_fma_f64 v[182:183], v[109:110], s[18:19], -v[165:166]
	v_fma_f64 v[184:185], v[123:124], s[50:51], v[169:170]
	v_add_f64 v[8:9], v[64:65], v[8:9]
	v_add_f64 v[10:11], v[66:67], v[10:11]
	ds_load_b128 v[64:67], v181 offset:8448
	v_add_f64 v[72:73], v[68:69], v[72:73]
	v_add_f64 v[74:75], v[70:71], v[74:75]
	;; [unrolled: 1-line block ×4, first 2 shown]
	v_mul_f64 v[4:5], v[113:114], s[28:29]
	v_mul_f64 v[6:7], v[103:104], s[22:23]
	ds_load_b128 v[68:71], v181 offset:9856
	ds_load_b128 v[60:63], v181 offset:14080
	s_waitcnt lgkmcnt(2)
	v_add_f64 v[121:122], v[66:67], -v[50:51]
	v_add_f64 v[111:112], v[66:67], v[50:51]
	v_add_f64 v[8:9], v[117:118], v[8:9]
	;; [unrolled: 1-line block ×8, first 2 shown]
	v_add_f64 v[131:132], v[64:65], -v[48:49]
	s_waitcnt lgkmcnt(0)
	v_add_f64 v[129:130], v[70:71], -v[62:63]
	v_add_f64 v[119:120], v[70:71], v[62:63]
	v_fma_f64 v[186:187], v[109:110], s[22:23], v[4:5]
	v_fma_f64 v[188:189], v[123:124], s[48:49], v[6:7]
	v_fma_f64 v[4:5], v[109:110], s[22:23], -v[4:5]
	v_fma_f64 v[6:7], v[123:124], s[28:29], v[6:7]
	v_add_f64 v[125:126], v[68:69], v[60:61]
	v_mul_f64 v[167:168], v[121:122], s[14:15]
	v_mul_f64 v[173:174], v[111:112], s[12:13]
	v_mul_f64 v[175:176], v[121:122], s[42:43]
	v_mul_f64 v[179:180], v[111:112], s[16:17]
	v_add_f64 v[8:9], v[133:134], v[8:9]
	v_add_f64 v[10:11], v[135:136], v[10:11]
	;; [unrolled: 1-line block ×6, first 2 shown]
	ds_load_b128 v[76:79], v181 offset:11264
	ds_load_b128 v[72:75], v181 offset:12672
	v_add_f64 v[137:138], v[68:69], -v[60:61]
	v_mul_f64 v[171:172], v[129:130], s[46:47]
	v_mul_f64 v[177:178], v[119:120], s[26:27]
	;; [unrolled: 1-line block ×4, first 2 shown]
	s_waitcnt lgkmcnt(0)
	s_barrier
	buffer_gl0_inv
	v_fma_f64 v[194:195], v[117:118], s[12:13], -v[167:168]
	v_fma_f64 v[196:197], v[131:132], s[14:15], v[173:174]
	v_fma_f64 v[198:199], v[117:118], s[16:17], v[175:176]
	;; [unrolled: 1-line block ×3, first 2 shown]
	v_fma_f64 v[202:203], v[117:118], s[16:17], -v[175:176]
	v_add_f64 v[135:136], v[78:79], -v[74:75]
	v_add_f64 v[127:128], v[78:79], v[74:75]
	v_fma_f64 v[204:205], v[131:132], s[42:43], v[179:180]
	v_add_f64 v[8:9], v[182:183], v[8:9]
	v_add_f64 v[10:11], v[184:185], v[10:11]
	;; [unrolled: 1-line block ×7, first 2 shown]
	v_add_f64 v[139:140], v[76:77], -v[72:73]
	v_fma_f64 v[186:187], v[125:126], s[26:27], -v[171:172]
	v_fma_f64 v[188:189], v[137:138], s[46:47], v[177:178]
	v_fma_f64 v[206:207], v[125:126], s[36:37], v[190:191]
	;; [unrolled: 1-line block ×3, first 2 shown]
	v_fma_f64 v[190:191], v[125:126], s[36:37], -v[190:191]
	v_fma_f64 v[192:193], v[137:138], s[40:41], v[192:193]
	v_mul_f64 v[175:176], v[135:136], s[40:41]
	v_mul_f64 v[179:180], v[127:128], s[36:37]
	;; [unrolled: 1-line block ×4, first 2 shown]
	v_add_f64 v[8:9], v[194:195], v[8:9]
	v_add_f64 v[10:11], v[196:197], v[10:11]
	;; [unrolled: 1-line block ×6, first 2 shown]
	v_fma_f64 v[194:195], v[133:134], s[36:37], -v[175:176]
	v_fma_f64 v[196:197], v[139:140], s[40:41], v[179:180]
	v_fma_f64 v[198:199], v[133:134], s[20:21], v[4:5]
	;; [unrolled: 1-line block ×3, first 2 shown]
	v_fma_f64 v[4:5], v[133:134], s[20:21], -v[4:5]
	v_fma_f64 v[6:7], v[139:140], s[56:57], v[6:7]
	v_add_f64 v[8:9], v[186:187], v[8:9]
	v_add_f64 v[10:11], v[188:189], v[10:11]
	;; [unrolled: 1-line block ×12, first 2 shown]
	v_cmpx_gt_u32_e32 0x58, v84
	s_cbranch_execz .LBB0_15
; %bb.14:
	v_add_f64 v[30:31], v[18:19], v[30:31]
	v_add_f64 v[28:29], v[16:17], v[28:29]
	v_mul_f64 v[182:183], v[131:132], s[50:51]
	v_mul_f64 v[184:185], v[121:122], s[50:51]
	;; [unrolled: 1-line block ×8, first 2 shown]
	v_add_f64 v[30:31], v[30:31], v[34:35]
	v_add_f64 v[28:29], v[28:29], v[32:33]
	v_mul_f64 v[34:35], v[147:148], s[50:51]
	v_mul_f64 v[32:33], v[147:148], s[34:35]
	s_delay_alu instid0(VALU_DEP_4) | instskip(NEXT) | instid1(VALU_DEP_4)
	v_add_f64 v[30:31], v[30:31], v[42:43]
	v_add_f64 v[28:29], v[28:29], v[40:41]
	s_delay_alu instid0(VALU_DEP_2) | instskip(NEXT) | instid1(VALU_DEP_2)
	v_add_f64 v[30:31], v[30:31], v[54:55]
	v_add_f64 v[28:29], v[28:29], v[52:53]
	v_mul_f64 v[52:53], v[141:142], s[24:25]
	v_mul_f64 v[54:55], v[141:142], s[44:45]
	s_delay_alu instid0(VALU_DEP_4) | instskip(NEXT) | instid1(VALU_DEP_4)
	v_add_f64 v[30:31], v[30:31], v[58:59]
	v_add_f64 v[28:29], v[28:29], v[56:57]
	v_mul_f64 v[56:57], v[141:142], s[34:35]
	v_mul_f64 v[58:59], v[141:142], s[50:51]
	s_delay_alu instid0(VALU_DEP_4) | instskip(NEXT) | instid1(VALU_DEP_4)
	v_add_f64 v[30:31], v[30:31], v[66:67]
	v_add_f64 v[28:29], v[28:29], v[64:65]
	v_fma_f64 v[64:65], v[145:146], s[20:21], -v[52:53]
	v_fma_f64 v[52:53], v[145:146], s[20:21], v[52:53]
	v_fma_f64 v[66:67], v[145:146], s[16:17], -v[54:55]
	v_fma_f64 v[54:55], v[145:146], s[16:17], v[54:55]
	v_add_f64 v[30:31], v[30:31], v[70:71]
	v_add_f64 v[28:29], v[28:29], v[68:69]
	v_fma_f64 v[68:69], v[145:146], s[26:27], -v[56:57]
	v_fma_f64 v[56:57], v[145:146], s[26:27], v[56:57]
	v_fma_f64 v[70:71], v[145:146], s[18:19], -v[58:59]
	v_fma_f64 v[58:59], v[145:146], s[18:19], v[58:59]
	v_add_f64 v[64:65], v[16:17], v[64:65]
	v_add_f64 v[52:53], v[16:17], v[52:53]
	;; [unrolled: 1-line block ×7, first 2 shown]
	s_delay_alu instid0(VALU_DEP_4) | instskip(NEXT) | instid1(VALU_DEP_4)
	v_add_f64 v[30:31], v[30:31], v[74:75]
	v_add_f64 v[28:29], v[28:29], v[72:73]
	s_delay_alu instid0(VALU_DEP_2) | instskip(NEXT) | instid1(VALU_DEP_2)
	v_add_f64 v[30:31], v[30:31], v[62:63]
	v_add_f64 v[28:29], v[28:29], v[60:61]
	s_delay_alu instid0(VALU_DEP_2) | instskip(NEXT) | instid1(VALU_DEP_2)
	v_add_f64 v[30:31], v[30:31], v[50:51]
	v_add_f64 v[28:29], v[28:29], v[48:49]
	v_mul_f64 v[48:49], v[141:142], s[28:29]
	v_mul_f64 v[50:51], v[141:142], s[40:41]
	s_delay_alu instid0(VALU_DEP_4) | instskip(NEXT) | instid1(VALU_DEP_4)
	v_add_f64 v[30:31], v[30:31], v[46:47]
	v_add_f64 v[28:29], v[28:29], v[44:45]
	v_fma_f64 v[46:47], v[143:144], s[18:19], v[34:35]
	v_fma_f64 v[34:35], v[143:144], s[18:19], -v[34:35]
	v_fma_f64 v[44:45], v[143:144], s[26:27], v[32:33]
	v_fma_f64 v[32:33], v[143:144], s[26:27], -v[32:33]
	v_fma_f64 v[60:61], v[145:146], s[22:23], -v[48:49]
	v_fma_f64 v[48:49], v[145:146], s[22:23], v[48:49]
	v_fma_f64 v[62:63], v[145:146], s[36:37], -v[50:51]
	v_fma_f64 v[50:51], v[145:146], s[36:37], v[50:51]
	v_add_f64 v[30:31], v[30:31], v[38:39]
	v_add_f64 v[28:29], v[28:29], v[36:37]
	v_add_f64 v[141:142], v[18:19], v[44:45]
	v_add_f64 v[44:45], v[18:19], v[32:33]
	v_mul_f64 v[32:33], v[107:108], s[24:25]
	v_add_f64 v[60:61], v[16:17], v[60:61]
	v_add_f64 v[48:49], v[16:17], v[48:49]
	;; [unrolled: 1-line block ×6, first 2 shown]
	v_mul_f64 v[28:29], v[147:148], s[24:25]
	v_mul_f64 v[30:31], v[147:148], s[44:45]
	v_add_f64 v[32:33], v[159:160], -v[32:33]
	v_mul_f64 v[159:160], v[137:138], s[42:43]
	v_add_f64 v[22:23], v[26:27], v[22:23]
	v_add_f64 v[20:21], v[24:25], v[20:21]
	v_mul_f64 v[24:25], v[147:148], s[28:29]
	v_mul_f64 v[26:27], v[147:148], s[40:41]
	v_fma_f64 v[40:41], v[143:144], s[20:21], v[28:29]
	v_fma_f64 v[28:29], v[143:144], s[20:21], -v[28:29]
	v_fma_f64 v[42:43], v[143:144], s[16:17], v[30:31]
	v_fma_f64 v[30:31], v[143:144], s[16:17], -v[30:31]
	v_add_f64 v[14:15], v[22:23], v[14:15]
	v_add_f64 v[12:13], v[20:21], v[12:13]
	v_mul_f64 v[20:21], v[147:148], s[10:11]
	v_mul_f64 v[22:23], v[145:146], s[4:5]
	v_fma_f64 v[36:37], v[143:144], s[22:23], v[24:25]
	v_fma_f64 v[24:25], v[143:144], s[22:23], -v[24:25]
	v_fma_f64 v[38:39], v[143:144], s[36:37], v[26:27]
	v_fma_f64 v[26:27], v[143:144], s[36:37], -v[26:27]
	v_add_f64 v[143:144], v[18:19], v[46:47]
	v_add_f64 v[145:146], v[18:19], v[34:35]
	v_mul_f64 v[34:35], v[95:96], s[42:43]
	v_mul_f64 v[46:47], v[91:92], s[16:17]
	v_add_f64 v[78:79], v[18:19], v[42:43]
	v_add_f64 v[42:43], v[16:17], v[54:55]
	;; [unrolled: 1-line block ×3, first 2 shown]
	v_mul_f64 v[56:57], v[97:98], s[20:21]
	v_add_f64 v[74:75], v[18:19], v[40:41]
	v_add_f64 v[40:41], v[18:19], v[30:31]
	v_mul_f64 v[30:31], v[115:116], s[48:49]
	v_add_f64 v[76:77], v[18:19], v[28:29]
	v_mul_f64 v[28:29], v[123:124], s[50:51]
	v_add_f64 v[147:148], v[16:17], v[58:59]
	v_add_f64 v[20:21], v[151:152], -v[20:21]
	v_add_f64 v[22:23], v[22:23], v[149:150]
	v_add_f64 v[36:37], v[18:19], v[36:37]
	v_add_f64 v[24:25], v[18:19], v[24:25]
	v_add_f64 v[38:39], v[18:19], v[38:39]
	v_add_f64 v[72:73], v[18:19], v[26:27]
	v_mul_f64 v[26:27], v[131:132], s[14:15]
	v_add_f64 v[34:35], v[155:156], -v[34:35]
	v_add_f64 v[46:47], v[46:47], v[153:154]
	v_mul_f64 v[155:156], v[139:140], s[42:43]
	v_add_f64 v[56:57], v[56:57], v[157:158]
	v_mul_f64 v[157:158], v[135:136], s[42:43]
	v_add_f64 v[30:31], v[163:164], -v[30:31]
	v_mul_f64 v[163:164], v[139:140], s[30:31]
	v_add_f64 v[28:29], v[169:170], -v[28:29]
	v_mul_f64 v[169:170], v[107:108], s[38:39]
	v_add_f64 v[20:21], v[18:19], v[20:21]
	v_add_f64 v[22:23], v[16:17], v[22:23]
	v_mul_f64 v[18:19], v[137:138], s[46:47]
	v_mul_f64 v[16:17], v[139:140], s[40:41]
	v_add_f64 v[26:27], v[173:174], -v[26:27]
	v_mul_f64 v[173:174], v[115:116], s[54:55]
	v_add_f64 v[20:21], v[34:35], v[20:21]
	v_add_f64 v[22:23], v[46:47], v[22:23]
	v_mul_f64 v[34:35], v[101:102], s[22:23]
	v_add_f64 v[18:19], v[177:178], -v[18:19]
	v_add_f64 v[16:17], v[179:180], -v[16:17]
	v_mul_f64 v[177:178], v[123:124], s[46:47]
	v_mul_f64 v[179:180], v[113:114], s[46:47]
	v_add_f64 v[20:21], v[32:33], v[20:21]
	v_add_f64 v[22:23], v[56:57], v[22:23]
	;; [unrolled: 1-line block ×3, first 2 shown]
	v_mul_f64 v[32:33], v[109:110], s[18:19]
	v_mul_f64 v[161:162], v[129:130], s[42:43]
	v_add_f64 v[20:21], v[30:31], v[20:21]
	v_mul_f64 v[30:31], v[117:118], s[12:13]
	v_add_f64 v[22:23], v[34:35], v[22:23]
	v_add_f64 v[32:33], v[32:33], v[165:166]
	v_mul_f64 v[165:166], v[135:136], s[30:31]
	v_add_f64 v[20:21], v[28:29], v[20:21]
	;; [unrolled: 3-line block ×3, first 2 shown]
	v_mul_f64 v[167:168], v[87:88], s[28:29]
	v_add_f64 v[20:21], v[26:27], v[20:21]
	v_mul_f64 v[26:27], v[133:134], s[36:37]
	v_add_f64 v[28:29], v[28:29], v[171:172]
	v_add_f64 v[22:23], v[30:31], v[22:23]
	v_mul_f64 v[30:31], v[107:108], s[50:51]
	v_mul_f64 v[171:172], v[93:94], s[38:39]
	v_add_f64 v[18:19], v[18:19], v[20:21]
	v_add_f64 v[26:27], v[26:27], v[175:176]
	v_mul_f64 v[175:176], v[105:106], s[54:55]
	v_add_f64 v[20:21], v[28:29], v[22:23]
	v_mul_f64 v[28:29], v[87:88], s[54:55]
	v_fma_f64 v[32:33], v[89:90], s[18:19], v[30:31]
	v_add_f64 v[18:19], v[16:17], v[18:19]
	s_delay_alu instid0(VALU_DEP_4) | instskip(SKIP_2) | instid1(VALU_DEP_2)
	v_add_f64 v[16:17], v[26:27], v[20:21]
	v_mul_f64 v[26:27], v[95:96], s[54:55]
	v_fma_f64 v[22:23], v[91:92], s[36:37], -v[28:29]
	v_fma_f64 v[20:21], v[85:86], s[36:37], v[26:27]
	s_delay_alu instid0(VALU_DEP_2) | instskip(SKIP_1) | instid1(VALU_DEP_3)
	v_add_f64 v[22:23], v[22:23], v[60:61]
	v_fma_f64 v[26:27], v[85:86], s[36:37], -v[26:27]
	v_add_f64 v[20:21], v[20:21], v[36:37]
	s_delay_alu instid0(VALU_DEP_2)
	v_add_f64 v[24:25], v[26:27], v[24:25]
	v_fma_f64 v[26:27], v[91:92], s[36:37], v[28:29]
	v_fma_f64 v[28:29], v[89:90], s[18:19], -v[30:31]
	v_fma_f64 v[30:31], v[133:134], s[16:17], v[157:158]
	v_add_f64 v[20:21], v[32:33], v[20:21]
	v_mul_f64 v[32:33], v[93:94], s[50:51]
	v_add_f64 v[26:27], v[26:27], v[48:49]
	v_add_f64 v[24:25], v[28:29], v[24:25]
	s_delay_alu instid0(VALU_DEP_3) | instskip(SKIP_2) | instid1(VALU_DEP_3)
	v_fma_f64 v[34:35], v[97:98], s[18:19], -v[32:33]
	v_fma_f64 v[28:29], v[97:98], s[18:19], v[32:33]
	v_mul_f64 v[32:33], v[95:96], s[52:53]
	v_add_f64 v[22:23], v[34:35], v[22:23]
	v_mul_f64 v[34:35], v[115:116], s[10:11]
	s_delay_alu instid0(VALU_DEP_4) | instskip(NEXT) | instid1(VALU_DEP_2)
	v_add_f64 v[26:27], v[28:29], v[26:27]
	v_fma_f64 v[36:37], v[99:100], s[4:5], v[34:35]
	v_fma_f64 v[28:29], v[99:100], s[4:5], -v[34:35]
	v_mul_f64 v[34:35], v[87:88], s[52:53]
	s_delay_alu instid0(VALU_DEP_3) | instskip(SKIP_1) | instid1(VALU_DEP_4)
	v_add_f64 v[20:21], v[36:37], v[20:21]
	v_mul_f64 v[36:37], v[105:106], s[10:11]
	v_add_f64 v[24:25], v[28:29], v[24:25]
	s_delay_alu instid0(VALU_DEP_2) | instskip(SKIP_2) | instid1(VALU_DEP_3)
	v_fma_f64 v[46:47], v[101:102], s[4:5], -v[36:37]
	v_fma_f64 v[28:29], v[101:102], s[4:5], v[36:37]
	v_mul_f64 v[36:37], v[107:108], s[46:47]
	v_add_f64 v[22:23], v[46:47], v[22:23]
	v_mul_f64 v[46:47], v[123:124], s[56:57]
	s_delay_alu instid0(VALU_DEP_4) | instskip(NEXT) | instid1(VALU_DEP_2)
	v_add_f64 v[26:27], v[28:29], v[26:27]
	v_fma_f64 v[56:57], v[103:104], s[20:21], v[46:47]
	v_fma_f64 v[28:29], v[103:104], s[20:21], -v[46:47]
	s_delay_alu instid0(VALU_DEP_2) | instskip(SKIP_1) | instid1(VALU_DEP_3)
	v_add_f64 v[20:21], v[56:57], v[20:21]
	v_mul_f64 v[56:57], v[113:114], s[56:57]
	v_add_f64 v[24:25], v[28:29], v[24:25]
	s_delay_alu instid0(VALU_DEP_2) | instskip(SKIP_1) | instid1(VALU_DEP_2)
	v_fma_f64 v[58:59], v[109:110], s[20:21], -v[56:57]
	v_fma_f64 v[28:29], v[109:110], s[20:21], v[56:57]
	v_add_f64 v[22:23], v[58:59], v[22:23]
	v_mul_f64 v[58:59], v[131:132], s[34:35]
	s_delay_alu instid0(VALU_DEP_3) | instskip(NEXT) | instid1(VALU_DEP_2)
	v_add_f64 v[26:27], v[28:29], v[26:27]
	v_fma_f64 v[60:61], v[111:112], s[26:27], v[58:59]
	v_fma_f64 v[28:29], v[111:112], s[26:27], -v[58:59]
	s_delay_alu instid0(VALU_DEP_2) | instskip(SKIP_1) | instid1(VALU_DEP_3)
	v_add_f64 v[20:21], v[60:61], v[20:21]
	v_mul_f64 v[60:61], v[121:122], s[34:35]
	v_add_f64 v[24:25], v[28:29], v[24:25]
	s_delay_alu instid0(VALU_DEP_2) | instskip(SKIP_1) | instid1(VALU_DEP_2)
	v_fma_f64 v[149:150], v[117:118], s[26:27], -v[60:61]
	v_fma_f64 v[28:29], v[117:118], s[26:27], v[60:61]
	v_add_f64 v[22:23], v[149:150], v[22:23]
	v_mul_f64 v[149:150], v[137:138], s[14:15]
	s_delay_alu instid0(VALU_DEP_3) | instskip(NEXT) | instid1(VALU_DEP_2)
	v_add_f64 v[26:27], v[28:29], v[26:27]
	v_fma_f64 v[151:152], v[119:120], s[12:13], v[149:150]
	v_fma_f64 v[28:29], v[119:120], s[12:13], -v[149:150]
	s_delay_alu instid0(VALU_DEP_2) | instskip(SKIP_1) | instid1(VALU_DEP_3)
	v_add_f64 v[20:21], v[151:152], v[20:21]
	v_mul_f64 v[151:152], v[129:130], s[14:15]
	v_add_f64 v[24:25], v[28:29], v[24:25]
	s_delay_alu instid0(VALU_DEP_2) | instskip(SKIP_1) | instid1(VALU_DEP_2)
	v_fma_f64 v[28:29], v[125:126], s[12:13], v[151:152]
	v_fma_f64 v[153:154], v[125:126], s[12:13], -v[151:152]
	v_add_f64 v[28:29], v[28:29], v[26:27]
	v_fma_f64 v[26:27], v[127:128], s[16:17], -v[155:156]
	s_delay_alu instid0(VALU_DEP_3) | instskip(SKIP_2) | instid1(VALU_DEP_4)
	v_add_f64 v[153:154], v[153:154], v[22:23]
	v_fma_f64 v[22:23], v[127:128], s[16:17], v[155:156]
	v_mul_f64 v[155:156], v[139:140], s[28:29]
	v_add_f64 v[26:27], v[26:27], v[24:25]
	v_add_f64 v[24:25], v[30:31], v[28:29]
	v_fma_f64 v[28:29], v[85:86], s[4:5], v[32:33]
	v_fma_f64 v[30:31], v[91:92], s[4:5], -v[34:35]
	v_fma_f64 v[32:33], v[85:86], s[4:5], -v[32:33]
	v_fma_f64 v[34:35], v[91:92], s[4:5], v[34:35]
	v_add_f64 v[22:23], v[22:23], v[20:21]
	v_fma_f64 v[20:21], v[133:134], s[16:17], -v[157:158]
	v_mul_f64 v[157:158], v[135:136], s[28:29]
	v_add_f64 v[28:29], v[28:29], v[38:39]
	v_fma_f64 v[38:39], v[89:90], s[26:27], v[36:37]
	v_add_f64 v[30:31], v[30:31], v[62:63]
	v_add_f64 v[32:33], v[32:33], v[72:73]
	v_fma_f64 v[36:37], v[89:90], s[26:27], -v[36:37]
	v_add_f64 v[34:35], v[34:35], v[50:51]
	v_add_f64 v[20:21], v[20:21], v[153:154]
	v_mul_f64 v[72:73], v[115:116], s[14:15]
	v_mul_f64 v[50:51], v[87:88], s[14:15]
	v_add_f64 v[28:29], v[38:39], v[28:29]
	v_mul_f64 v[38:39], v[93:94], s[46:47]
	v_add_f64 v[32:33], v[36:37], v[32:33]
	s_delay_alu instid0(VALU_DEP_2) | instskip(SKIP_2) | instid1(VALU_DEP_3)
	v_fma_f64 v[46:47], v[97:98], s[26:27], -v[38:39]
	v_fma_f64 v[36:37], v[97:98], s[26:27], v[38:39]
	v_fma_f64 v[38:39], v[133:134], s[22:23], v[157:158]
	v_add_f64 v[30:31], v[46:47], v[30:31]
	v_mul_f64 v[46:47], v[115:116], s[44:45]
	s_delay_alu instid0(VALU_DEP_4) | instskip(NEXT) | instid1(VALU_DEP_2)
	v_add_f64 v[34:35], v[36:37], v[34:35]
	v_fma_f64 v[48:49], v[99:100], s[16:17], v[46:47]
	v_fma_f64 v[36:37], v[99:100], s[16:17], -v[46:47]
	v_fma_f64 v[46:47], v[91:92], s[12:13], v[50:51]
	v_fma_f64 v[50:51], v[91:92], s[12:13], -v[50:51]
	s_delay_alu instid0(VALU_DEP_4)
	v_add_f64 v[28:29], v[48:49], v[28:29]
	v_mul_f64 v[48:49], v[105:106], s[44:45]
	v_add_f64 v[32:33], v[36:37], v[32:33]
	v_add_f64 v[46:47], v[46:47], v[52:53]
	v_mul_f64 v[52:53], v[107:108], s[54:55]
	v_add_f64 v[50:51], v[50:51], v[64:65]
	v_fma_f64 v[64:65], v[133:134], s[26:27], -v[214:215]
	v_fma_f64 v[56:57], v[101:102], s[16:17], -v[48:49]
	v_fma_f64 v[36:37], v[101:102], s[16:17], v[48:49]
	v_mul_f64 v[48:49], v[95:96], s[14:15]
	s_delay_alu instid0(VALU_DEP_3) | instskip(SKIP_1) | instid1(VALU_DEP_4)
	v_add_f64 v[30:31], v[56:57], v[30:31]
	v_mul_f64 v[56:57], v[123:124], s[14:15]
	v_add_f64 v[34:35], v[36:37], v[34:35]
	s_delay_alu instid0(VALU_DEP_2) | instskip(SKIP_2) | instid1(VALU_DEP_3)
	v_fma_f64 v[58:59], v[103:104], s[12:13], v[56:57]
	v_fma_f64 v[36:37], v[103:104], s[12:13], -v[56:57]
	v_mul_f64 v[56:57], v[95:96], s[24:25]
	v_add_f64 v[28:29], v[58:59], v[28:29]
	v_mul_f64 v[58:59], v[113:114], s[14:15]
	s_delay_alu instid0(VALU_DEP_4) | instskip(NEXT) | instid1(VALU_DEP_2)
	v_add_f64 v[32:33], v[36:37], v[32:33]
	v_fma_f64 v[60:61], v[109:110], s[12:13], -v[58:59]
	v_fma_f64 v[36:37], v[109:110], s[12:13], v[58:59]
	v_mul_f64 v[58:59], v[87:88], s[24:25]
	s_delay_alu instid0(VALU_DEP_3) | instskip(SKIP_1) | instid1(VALU_DEP_4)
	v_add_f64 v[30:31], v[60:61], v[30:31]
	v_mul_f64 v[60:61], v[131:132], s[56:57]
	v_add_f64 v[34:35], v[36:37], v[34:35]
	s_delay_alu instid0(VALU_DEP_2) | instskip(SKIP_2) | instid1(VALU_DEP_3)
	v_fma_f64 v[62:63], v[111:112], s[20:21], v[60:61]
	v_fma_f64 v[36:37], v[111:112], s[20:21], -v[60:61]
	v_mul_f64 v[60:61], v[107:108], s[28:29]
	v_add_f64 v[28:29], v[62:63], v[28:29]
	v_mul_f64 v[62:63], v[121:122], s[56:57]
	s_delay_alu instid0(VALU_DEP_4) | instskip(NEXT) | instid1(VALU_DEP_2)
	v_add_f64 v[32:33], v[36:37], v[32:33]
	;; [unrolled: 15-line block ×3, first 2 shown]
	v_fma_f64 v[36:37], v[125:126], s[18:19], v[151:152]
	v_fma_f64 v[153:154], v[125:126], s[18:19], -v[151:152]
	v_mul_f64 v[151:152], v[123:124], s[52:53]
	s_delay_alu instid0(VALU_DEP_3) | instskip(SKIP_1) | instid1(VALU_DEP_4)
	v_add_f64 v[36:37], v[36:37], v[34:35]
	v_fma_f64 v[34:35], v[127:128], s[22:23], -v[155:156]
	v_add_f64 v[153:154], v[153:154], v[30:31]
	v_fma_f64 v[30:31], v[127:128], s[22:23], v[155:156]
	v_mul_f64 v[155:156], v[131:132], s[54:55]
	s_delay_alu instid0(VALU_DEP_4)
	v_add_f64 v[34:35], v[34:35], v[32:33]
	v_add_f64 v[32:33], v[38:39], v[36:37]
	v_fma_f64 v[36:37], v[85:86], s[20:21], -v[56:57]
	v_fma_f64 v[38:39], v[91:92], s[20:21], v[58:59]
	v_add_f64 v[30:31], v[30:31], v[28:29]
	v_fma_f64 v[28:29], v[133:134], s[22:23], -v[157:158]
	v_mul_f64 v[157:158], v[121:122], s[54:55]
	v_fma_f64 v[56:57], v[85:86], s[20:21], v[56:57]
	v_fma_f64 v[58:59], v[91:92], s[20:21], -v[58:59]
	v_add_f64 v[36:37], v[36:37], v[44:45]
	v_fma_f64 v[44:45], v[89:90], s[22:23], -v[60:61]
	v_add_f64 v[38:39], v[38:39], v[54:55]
	v_add_f64 v[28:29], v[28:29], v[153:154]
	v_mul_f64 v[153:154], v[113:114], s[52:53]
	v_mul_f64 v[54:55], v[95:96], s[28:29]
	v_add_f64 v[56:57], v[56:57], v[141:142]
	v_fma_f64 v[60:61], v[89:90], s[22:23], v[60:61]
	v_add_f64 v[58:59], v[58:59], v[68:69]
	v_mul_f64 v[68:69], v[107:108], s[44:45]
	v_add_f64 v[36:37], v[44:45], v[36:37]
	v_fma_f64 v[44:45], v[97:98], s[22:23], v[62:63]
	v_add_f64 v[56:57], v[60:61], v[56:57]
	v_fma_f64 v[60:61], v[97:98], s[22:23], -v[62:63]
	v_fma_f64 v[62:63], v[133:134], s[18:19], -v[165:166]
	s_delay_alu instid0(VALU_DEP_4) | instskip(SKIP_1) | instid1(VALU_DEP_4)
	v_add_f64 v[38:39], v[44:45], v[38:39]
	v_fma_f64 v[44:45], v[99:100], s[12:13], -v[72:73]
	v_add_f64 v[58:59], v[60:61], v[58:59]
	v_fma_f64 v[60:61], v[99:100], s[12:13], v[72:73]
	v_fma_f64 v[72:73], v[89:90], s[16:17], -v[68:69]
	v_fma_f64 v[68:69], v[89:90], s[16:17], v[68:69]
	v_add_f64 v[36:37], v[44:45], v[36:37]
	v_fma_f64 v[44:45], v[101:102], s[12:13], v[149:150]
	v_add_f64 v[56:57], v[60:61], v[56:57]
	v_fma_f64 v[60:61], v[101:102], s[12:13], -v[149:150]
	s_delay_alu instid0(VALU_DEP_3) | instskip(SKIP_1) | instid1(VALU_DEP_3)
	v_add_f64 v[38:39], v[44:45], v[38:39]
	v_fma_f64 v[44:45], v[103:104], s[4:5], -v[151:152]
	v_add_f64 v[58:59], v[60:61], v[58:59]
	v_fma_f64 v[60:61], v[103:104], s[4:5], v[151:152]
	s_delay_alu instid0(VALU_DEP_3) | instskip(SKIP_1) | instid1(VALU_DEP_3)
	v_add_f64 v[36:37], v[44:45], v[36:37]
	v_fma_f64 v[44:45], v[109:110], s[4:5], v[153:154]
	v_add_f64 v[56:57], v[60:61], v[56:57]
	v_fma_f64 v[60:61], v[109:110], s[4:5], -v[153:154]
	s_delay_alu instid0(VALU_DEP_3) | instskip(SKIP_1) | instid1(VALU_DEP_3)
	v_add_f64 v[38:39], v[44:45], v[38:39]
	v_fma_f64 v[44:45], v[111:112], s[36:37], -v[155:156]
	v_add_f64 v[58:59], v[60:61], v[58:59]
	v_fma_f64 v[60:61], v[111:112], s[36:37], v[155:156]
	s_delay_alu instid0(VALU_DEP_3) | instskip(SKIP_1) | instid1(VALU_DEP_3)
	;; [unrolled: 10-line block ×4, first 2 shown]
	v_add_f64 v[38:39], v[38:39], v[36:37]
	v_fma_f64 v[36:37], v[133:134], s[18:19], v[165:166]
	v_add_f64 v[58:59], v[58:59], v[56:57]
	v_add_f64 v[56:57], v[62:63], v[60:61]
	s_delay_alu instid0(VALU_DEP_3) | instskip(SKIP_1) | instid1(VALU_DEP_1)
	v_add_f64 v[36:37], v[36:37], v[44:45]
	v_fma_f64 v[44:45], v[85:86], s[22:23], -v[54:55]
	v_add_f64 v[40:41], v[44:45], v[40:41]
	v_fma_f64 v[44:45], v[91:92], s[22:23], v[167:168]
	s_delay_alu instid0(VALU_DEP_1) | instskip(SKIP_1) | instid1(VALU_DEP_1)
	v_add_f64 v[42:43], v[44:45], v[42:43]
	v_fma_f64 v[44:45], v[89:90], s[12:13], -v[169:170]
	v_add_f64 v[40:41], v[44:45], v[40:41]
	v_fma_f64 v[44:45], v[97:98], s[12:13], v[171:172]
	s_delay_alu instid0(VALU_DEP_1) | instskip(SKIP_1) | instid1(VALU_DEP_1)
	;; [unrolled: 5-line block ×6, first 2 shown]
	v_add_f64 v[44:45], v[44:45], v[42:43]
	v_fma_f64 v[42:43], v[127:128], s[4:5], -v[190:191]
	v_add_f64 v[42:43], v[42:43], v[40:41]
	v_fma_f64 v[40:41], v[133:134], s[4:5], v[192:193]
	s_delay_alu instid0(VALU_DEP_1) | instskip(SKIP_2) | instid1(VALU_DEP_2)
	v_add_f64 v[40:41], v[40:41], v[44:45]
	v_fma_f64 v[44:45], v[85:86], s[12:13], -v[48:49]
	v_fma_f64 v[48:49], v[85:86], s[12:13], v[48:49]
	v_add_f64 v[44:45], v[44:45], v[76:77]
	v_fma_f64 v[76:77], v[89:90], s[36:37], -v[52:53]
	s_delay_alu instid0(VALU_DEP_3) | instskip(SKIP_1) | instid1(VALU_DEP_3)
	v_add_f64 v[48:49], v[48:49], v[74:75]
	v_fma_f64 v[52:53], v[89:90], s[36:37], v[52:53]
	v_add_f64 v[44:45], v[76:77], v[44:45]
	v_mul_f64 v[76:77], v[93:94], s[54:55]
	s_delay_alu instid0(VALU_DEP_3) | instskip(NEXT) | instid1(VALU_DEP_2)
	v_add_f64 v[48:49], v[52:53], v[48:49]
	v_fma_f64 v[194:195], v[97:98], s[36:37], v[76:77]
	v_fma_f64 v[52:53], v[97:98], s[36:37], -v[76:77]
	s_delay_alu instid0(VALU_DEP_2) | instskip(SKIP_1) | instid1(VALU_DEP_3)
	v_add_f64 v[46:47], v[194:195], v[46:47]
	v_mul_f64 v[194:195], v[115:116], s[30:31]
	v_add_f64 v[50:51], v[52:53], v[50:51]
	s_delay_alu instid0(VALU_DEP_2) | instskip(SKIP_1) | instid1(VALU_DEP_2)
	v_fma_f64 v[196:197], v[99:100], s[18:19], -v[194:195]
	v_fma_f64 v[52:53], v[99:100], s[18:19], v[194:195]
	v_add_f64 v[44:45], v[196:197], v[44:45]
	v_mul_f64 v[196:197], v[105:106], s[30:31]
	s_delay_alu instid0(VALU_DEP_3) | instskip(NEXT) | instid1(VALU_DEP_2)
	v_add_f64 v[48:49], v[52:53], v[48:49]
	v_fma_f64 v[198:199], v[101:102], s[18:19], v[196:197]
	v_fma_f64 v[52:53], v[101:102], s[18:19], -v[196:197]
	s_delay_alu instid0(VALU_DEP_2) | instskip(SKIP_1) | instid1(VALU_DEP_3)
	v_add_f64 v[46:47], v[198:199], v[46:47]
	v_mul_f64 v[198:199], v[123:124], s[44:45]
	v_add_f64 v[50:51], v[52:53], v[50:51]
	s_delay_alu instid0(VALU_DEP_2) | instskip(SKIP_1) | instid1(VALU_DEP_2)
	v_fma_f64 v[200:201], v[103:104], s[16:17], -v[198:199]
	;; [unrolled: 13-line block ×4, first 2 shown]
	v_fma_f64 v[52:53], v[119:120], s[22:23], v[206:207]
	v_add_f64 v[44:45], v[208:209], v[44:45]
	v_mul_f64 v[208:209], v[129:130], s[48:49]
	s_delay_alu instid0(VALU_DEP_3) | instskip(NEXT) | instid1(VALU_DEP_2)
	v_add_f64 v[48:49], v[52:53], v[48:49]
	v_fma_f64 v[52:53], v[125:126], s[22:23], -v[208:209]
	v_fma_f64 v[210:211], v[125:126], s[22:23], v[208:209]
	s_delay_alu instid0(VALU_DEP_2) | instskip(SKIP_1) | instid1(VALU_DEP_3)
	v_add_f64 v[52:53], v[52:53], v[50:51]
	v_fma_f64 v[50:51], v[127:128], s[26:27], v[212:213]
	v_add_f64 v[210:211], v[210:211], v[46:47]
	v_fma_f64 v[46:47], v[127:128], s[26:27], -v[212:213]
	s_delay_alu instid0(VALU_DEP_3)
	v_add_f64 v[50:51], v[50:51], v[48:49]
	v_add_f64 v[48:49], v[64:65], v[52:53]
	v_fma_f64 v[52:53], v[85:86], s[22:23], v[54:55]
	v_fma_f64 v[54:55], v[91:92], s[22:23], -v[167:168]
	v_fma_f64 v[64:65], v[89:90], s[12:13], v[169:170]
	v_add_f64 v[46:47], v[46:47], v[44:45]
	v_fma_f64 v[44:45], v[133:134], s[26:27], v[214:215]
	v_add_f64 v[52:53], v[52:53], v[78:79]
	v_add_f64 v[54:55], v[54:55], v[66:67]
	v_fma_f64 v[66:67], v[133:134], s[4:5], -v[192:193]
	s_delay_alu instid0(VALU_DEP_4) | instskip(NEXT) | instid1(VALU_DEP_4)
	v_add_f64 v[44:45], v[44:45], v[210:211]
	v_add_f64 v[52:53], v[64:65], v[52:53]
	v_fma_f64 v[64:65], v[97:98], s[12:13], -v[171:172]
	s_delay_alu instid0(VALU_DEP_1) | instskip(SKIP_1) | instid1(VALU_DEP_1)
	v_add_f64 v[54:55], v[64:65], v[54:55]
	v_fma_f64 v[64:65], v[99:100], s[36:37], v[173:174]
	v_add_f64 v[52:53], v[64:65], v[52:53]
	v_fma_f64 v[64:65], v[101:102], s[36:37], -v[175:176]
	s_delay_alu instid0(VALU_DEP_1) | instskip(SKIP_1) | instid1(VALU_DEP_1)
	v_add_f64 v[54:55], v[64:65], v[54:55]
	v_fma_f64 v[64:65], v[103:104], s[26:27], v[177:178]
	;; [unrolled: 5-line block ×5, first 2 shown]
	v_add_f64 v[54:55], v[54:55], v[52:53]
	s_delay_alu instid0(VALU_DEP_3) | instskip(SKIP_2) | instid1(VALU_DEP_2)
	v_add_f64 v[52:53], v[66:67], v[64:65]
	v_mul_f64 v[64:65], v[95:96], s[34:35]
	v_mul_f64 v[66:67], v[87:88], s[34:35]
	v_fma_f64 v[60:61], v[85:86], s[26:27], -v[64:65]
	s_delay_alu instid0(VALU_DEP_2) | instskip(SKIP_2) | instid1(VALU_DEP_4)
	v_fma_f64 v[62:63], v[91:92], s[26:27], v[66:67]
	v_fma_f64 v[64:65], v[85:86], s[26:27], v[64:65]
	v_fma_f64 v[66:67], v[91:92], s[26:27], -v[66:67]
	v_add_f64 v[60:61], v[60:61], v[145:146]
	s_delay_alu instid0(VALU_DEP_4) | instskip(NEXT) | instid1(VALU_DEP_4)
	v_add_f64 v[62:63], v[62:63], v[147:148]
	v_add_f64 v[64:65], v[64:65], v[143:144]
	s_delay_alu instid0(VALU_DEP_4) | instskip(NEXT) | instid1(VALU_DEP_4)
	v_add_f64 v[66:67], v[66:67], v[70:71]
	v_add_f64 v[60:61], v[72:73], v[60:61]
	v_mul_f64 v[72:73], v[93:94], s[44:45]
	s_delay_alu instid0(VALU_DEP_4) | instskip(NEXT) | instid1(VALU_DEP_2)
	v_add_f64 v[64:65], v[68:69], v[64:65]
	v_fma_f64 v[74:75], v[97:98], s[16:17], v[72:73]
	v_fma_f64 v[72:73], v[97:98], s[16:17], -v[72:73]
	s_delay_alu instid0(VALU_DEP_2) | instskip(SKIP_1) | instid1(VALU_DEP_3)
	v_add_f64 v[62:63], v[74:75], v[62:63]
	v_mul_f64 v[74:75], v[115:116], s[24:25]
	v_add_f64 v[66:67], v[72:73], v[66:67]
	v_mul_f64 v[115:116], v[139:140], s[14:15]
	s_delay_alu instid0(VALU_DEP_3) | instskip(SKIP_1) | instid1(VALU_DEP_2)
	v_fma_f64 v[76:77], v[99:100], s[20:21], -v[74:75]
	v_fma_f64 v[70:71], v[99:100], s[20:21], v[74:75]
	v_add_f64 v[60:61], v[76:77], v[60:61]
	v_mul_f64 v[76:77], v[105:106], s[24:25]
	s_delay_alu instid0(VALU_DEP_3) | instskip(NEXT) | instid1(VALU_DEP_2)
	v_add_f64 v[64:65], v[70:71], v[64:65]
	v_fma_f64 v[78:79], v[101:102], s[20:21], v[76:77]
	v_fma_f64 v[74:75], v[101:102], s[20:21], -v[76:77]
	s_delay_alu instid0(VALU_DEP_2) | instskip(SKIP_1) | instid1(VALU_DEP_3)
	v_add_f64 v[62:63], v[78:79], v[62:63]
	v_mul_f64 v[78:79], v[123:124], s[40:41]
	v_add_f64 v[66:67], v[74:75], v[66:67]
	s_delay_alu instid0(VALU_DEP_2) | instskip(SKIP_1) | instid1(VALU_DEP_2)
	v_fma_f64 v[87:88], v[103:104], s[36:37], -v[78:79]
	v_fma_f64 v[68:69], v[103:104], s[36:37], v[78:79]
	v_add_f64 v[60:61], v[87:88], v[60:61]
	v_mul_f64 v[87:88], v[113:114], s[40:41]
	s_delay_alu instid0(VALU_DEP_3) | instskip(NEXT) | instid1(VALU_DEP_2)
	v_add_f64 v[64:65], v[68:69], v[64:65]
	v_fma_f64 v[93:94], v[109:110], s[36:37], v[87:88]
	v_fma_f64 v[72:73], v[109:110], s[36:37], -v[87:88]
	s_delay_alu instid0(VALU_DEP_2) | instskip(SKIP_1) | instid1(VALU_DEP_3)
	v_add_f64 v[62:63], v[93:94], v[62:63]
	v_mul_f64 v[93:94], v[131:132], s[28:29]
	v_add_f64 v[66:67], v[72:73], v[66:67]
	s_delay_alu instid0(VALU_DEP_2) | instskip(SKIP_1) | instid1(VALU_DEP_2)
	v_fma_f64 v[95:96], v[111:112], s[22:23], -v[93:94]
	v_fma_f64 v[70:71], v[111:112], s[22:23], v[93:94]
	v_add_f64 v[60:61], v[95:96], v[60:61]
	v_mul_f64 v[95:96], v[121:122], s[28:29]
	v_mul_f64 v[121:122], v[135:136], s[14:15]
	s_delay_alu instid0(VALU_DEP_4) | instskip(SKIP_1) | instid1(VALU_DEP_4)
	v_add_f64 v[64:65], v[70:71], v[64:65]
	v_fma_f64 v[70:71], v[127:128], s[12:13], v[115:116]
	v_fma_f64 v[105:106], v[117:118], s[22:23], v[95:96]
	v_fma_f64 v[74:75], v[117:118], s[22:23], -v[95:96]
	s_delay_alu instid0(VALU_DEP_2) | instskip(SKIP_1) | instid1(VALU_DEP_3)
	v_add_f64 v[62:63], v[105:106], v[62:63]
	v_mul_f64 v[105:106], v[137:138], s[10:11]
	v_add_f64 v[66:67], v[74:75], v[66:67]
	v_fma_f64 v[74:75], v[133:134], s[12:13], -v[121:122]
	s_delay_alu instid0(VALU_DEP_3) | instskip(SKIP_1) | instid1(VALU_DEP_2)
	v_fma_f64 v[107:108], v[119:120], s[4:5], -v[105:106]
	v_fma_f64 v[68:69], v[119:120], s[4:5], v[105:106]
	v_add_f64 v[60:61], v[107:108], v[60:61]
	v_mul_f64 v[107:108], v[129:130], s[10:11]
	s_delay_alu instid0(VALU_DEP_3) | instskip(NEXT) | instid1(VALU_DEP_2)
	v_add_f64 v[64:65], v[68:69], v[64:65]
	v_fma_f64 v[113:114], v[125:126], s[4:5], v[107:108]
	v_fma_f64 v[72:73], v[125:126], s[4:5], -v[107:108]
	s_delay_alu instid0(VALU_DEP_2) | instskip(SKIP_1) | instid1(VALU_DEP_3)
	v_add_f64 v[113:114], v[113:114], v[62:63]
	v_fma_f64 v[62:63], v[127:128], s[12:13], -v[115:116]
	v_add_f64 v[68:69], v[72:73], v[66:67]
	v_add_f64 v[66:67], v[70:71], v[64:65]
	s_delay_alu instid0(VALU_DEP_3) | instskip(SKIP_1) | instid1(VALU_DEP_4)
	v_add_f64 v[62:63], v[62:63], v[60:61]
	v_fma_f64 v[60:61], v[133:134], s[12:13], v[121:122]
	v_add_f64 v[64:65], v[74:75], v[68:69]
	v_lshl_add_u32 v68, v84, 8, v181
	s_delay_alu instid0(VALU_DEP_3)
	v_add_f64 v[60:61], v[60:61], v[113:114]
	ds_store_b128 v68, v[36:39] offset:32
	ds_store_b128 v68, v[40:43] offset:48
	;; [unrolled: 1-line block ×15, first 2 shown]
	ds_store_b128 v68, v[12:15]
	ds_store_b128 v68, v[64:67] offset:256
.LBB0_15:
	s_or_b32 exec_lo, exec_lo, s1
	v_and_b32_e32 v12, 0xff, v84
	s_load_b64 s[2:3], s[2:3], 0x0
	s_waitcnt lgkmcnt(0)
	s_barrier
	buffer_gl0_inv
	v_mul_lo_u16 v12, 0xf1, v12
	s_mov_b32 s0, 0x667f3bcd
	s_mov_b32 s1, 0xbfe6a09e
	;; [unrolled: 1-line block ×4, first 2 shown]
	v_lshrrev_b16 v87, 12, v12
	s_delay_alu instid0(VALU_DEP_1) | instskip(NEXT) | instid1(VALU_DEP_1)
	v_mul_lo_u16 v12, v87, 17
	v_sub_nc_u16 v12, v84, v12
	s_delay_alu instid0(VALU_DEP_1) | instskip(NEXT) | instid1(VALU_DEP_1)
	v_and_b32_e32 v88, 0xff, v12
	v_mul_u32_u24_e32 v12, 7, v88
	s_delay_alu instid0(VALU_DEP_1)
	v_lshlrev_b32_e32 v36, 4, v12
	s_clause 0x6
	global_load_b128 v[12:15], v36, s[8:9]
	global_load_b128 v[16:19], v36, s[8:9] offset:16
	global_load_b128 v[20:23], v36, s[8:9] offset:48
	;; [unrolled: 1-line block ×6, first 2 shown]
	ds_load_b128 v[40:43], v181 offset:2992
	ds_load_b128 v[44:47], v181 offset:5984
	;; [unrolled: 1-line block ×7, first 2 shown]
	s_waitcnt vmcnt(6) lgkmcnt(6)
	v_mul_f64 v[68:69], v[42:43], v[14:15]
	v_mul_f64 v[14:15], v[40:41], v[14:15]
	s_waitcnt vmcnt(5) lgkmcnt(5)
	v_mul_f64 v[70:71], v[46:47], v[18:19]
	v_mul_f64 v[18:19], v[44:45], v[18:19]
	;; [unrolled: 3-line block ×7, first 2 shown]
	v_fma_f64 v[40:41], v[40:41], v[12:13], v[68:69]
	v_fma_f64 v[42:43], v[42:43], v[12:13], -v[14:15]
	v_fma_f64 v[44:45], v[44:45], v[16:17], v[70:71]
	v_fma_f64 v[16:17], v[46:47], v[16:17], -v[18:19]
	;; [unrolled: 2-line block ×7, first 2 shown]
	ds_load_b128 v[12:15], v181
	s_waitcnt lgkmcnt(0)
	s_barrier
	buffer_gl0_inv
	v_add_f64 v[18:19], v[12:13], -v[18:19]
	v_add_f64 v[20:21], v[14:15], -v[20:21]
	;; [unrolled: 1-line block ×8, first 2 shown]
	v_fma_f64 v[12:13], v[12:13], 2.0, -v[18:19]
	v_fma_f64 v[14:15], v[14:15], 2.0, -v[20:21]
	;; [unrolled: 1-line block ×6, first 2 shown]
	v_add_f64 v[24:25], v[18:19], v[24:25]
	v_add_f64 v[22:23], v[20:21], -v[22:23]
	v_fma_f64 v[30:31], v[30:31], 2.0, -v[34:35]
	v_fma_f64 v[32:33], v[32:33], 2.0, -v[36:37]
	v_add_f64 v[44:45], v[26:27], v[36:37]
	v_add_f64 v[34:35], v[28:29], -v[34:35]
	v_add_f64 v[46:47], v[12:13], -v[38:39]
	;; [unrolled: 1-line block ×3, first 2 shown]
	v_fma_f64 v[50:51], v[18:19], 2.0, -v[24:25]
	v_fma_f64 v[52:53], v[20:21], 2.0, -v[22:23]
	v_add_f64 v[16:17], v[40:41], -v[30:31]
	v_add_f64 v[18:19], v[42:43], -v[32:33]
	v_fma_f64 v[20:21], v[26:27], 2.0, -v[44:45]
	v_fma_f64 v[26:27], v[28:29], 2.0, -v[34:35]
	v_fma_f64 v[28:29], v[44:45], s[4:5], v[24:25]
	v_fma_f64 v[30:31], v[34:35], s[4:5], v[22:23]
	v_fma_f64 v[12:13], v[12:13], 2.0, -v[46:47]
	v_fma_f64 v[14:15], v[14:15], 2.0, -v[48:49]
	v_fma_f64 v[32:33], v[40:41], 2.0, -v[16:17]
	v_fma_f64 v[54:55], v[42:43], 2.0, -v[18:19]
	v_fma_f64 v[56:57], v[20:21], s[0:1], v[50:51]
	v_fma_f64 v[58:59], v[26:27], s[0:1], v[52:53]
	v_add_f64 v[36:37], v[46:47], v[18:19]
	v_add_f64 v[38:39], v[48:49], -v[16:17]
	v_fma_f64 v[40:41], v[34:35], s[4:5], v[28:29]
	v_fma_f64 v[42:43], v[44:45], s[0:1], v[30:31]
	v_and_b32_e32 v44, 0xffff, v87
	v_lshlrev_b32_e32 v45, 4, v88
	s_delay_alu instid0(VALU_DEP_2) | instskip(NEXT) | instid1(VALU_DEP_1)
	v_mul_u32_u24_e32 v44, 0x880, v44
	v_add3_u32 v44, 0, v44, v45
	v_add_f64 v[28:29], v[12:13], -v[32:33]
	v_add_f64 v[30:31], v[14:15], -v[54:55]
	v_fma_f64 v[32:33], v[26:27], s[4:5], v[56:57]
	v_fma_f64 v[34:35], v[20:21], s[0:1], v[58:59]
	v_fma_f64 v[16:17], v[46:47], 2.0, -v[36:37]
	v_fma_f64 v[18:19], v[48:49], 2.0, -v[38:39]
	;; [unrolled: 1-line block ×4, first 2 shown]
	v_cmp_gt_u32_e64 s0, 0x88, v84
	v_fma_f64 v[12:13], v[12:13], 2.0, -v[28:29]
	v_fma_f64 v[14:15], v[14:15], 2.0, -v[30:31]
	;; [unrolled: 1-line block ×4, first 2 shown]
	ds_store_b128 v44, v[36:39] offset:1632
	ds_store_b128 v44, v[40:43] offset:1904
	;; [unrolled: 1-line block ×6, first 2 shown]
	ds_store_b128 v44, v[12:15]
	ds_store_b128 v44, v[20:23] offset:272
	s_waitcnt lgkmcnt(0)
	s_barrier
	buffer_gl0_inv
	s_and_saveexec_b32 s1, s0
	s_cbranch_execz .LBB0_17
; %bb.16:
	ds_load_b128 v[12:15], v181
	ds_load_b128 v[20:23], v181 offset:2176
	ds_load_b128 v[16:19], v181 offset:4352
	;; [unrolled: 1-line block ×10, first 2 shown]
.LBB0_17:
	s_or_b32 exec_lo, exec_lo, s1
	s_waitcnt lgkmcnt(0)
	s_barrier
	buffer_gl0_inv
	s_and_saveexec_b32 s16, s0
	s_cbranch_execz .LBB0_19
; %bb.18:
	v_dual_mov_b32 v45, 0 :: v_dual_add_nc_u32 v44, 0xffffff78, v84
	s_mov_b32 s22, 0xbb3a28a1
	s_mov_b32 s23, 0xbfe82f19
	;; [unrolled: 1-line block ×3, first 2 shown]
	s_delay_alu instid0(VALU_DEP_1)
	v_cndmask_b32_e64 v44, v44, v84, s0
	s_mov_b32 s27, 0xbfd207e7
	s_mov_b32 s21, 0x3fed1bb4
	;; [unrolled: 1-line block ×4, first 2 shown]
	v_mul_i32_i24_e32 v44, 10, v44
	s_mov_b32 s24, 0xf8bb580b
	s_mov_b32 s19, 0xbfefac9e
	;; [unrolled: 1-line block ×4, first 2 shown]
	v_lshlrev_b64 v[44:45], 4, v[44:45]
	s_mov_b32 s28, s24
	s_mov_b32 s10, 0x7f775887
	s_mov_b32 s11, 0xbfe4f49e
	s_mov_b32 s4, 0x9bcd5057
	s_mov_b32 s31, 0x3fefac9e
	v_add_co_u32 v85, s0, s8, v44
	s_delay_alu instid0(VALU_DEP_1)
	v_add_co_ci_u32_e64 v86, s0, s9, v45, s0
	s_mov_b32 s30, s18
	s_mov_b32 s5, 0xbfeeb42a
	;; [unrolled: 1-line block ×3, first 2 shown]
	s_clause 0x9
	global_load_b128 v[44:47], v[85:86], off offset:1904
	global_load_b128 v[48:51], v[85:86], off offset:1968
	;; [unrolled: 1-line block ×10, first 2 shown]
	s_mov_b32 s34, s26
	s_mov_b32 s14, 0x640f44db
	s_mov_b32 s0, 0xd9c712b6
	s_mov_b32 s12, 0x8764f0ba
	s_mov_b32 s15, 0xbfc2375f
	s_mov_b32 s1, 0x3fda9628
	s_mov_b32 s13, 0x3feaeb8c
	s_waitcnt vmcnt(9)
	v_mul_f64 v[89:90], v[20:21], v[46:47]
	v_mul_f64 v[46:47], v[22:23], v[46:47]
	s_waitcnt vmcnt(8)
	v_mul_f64 v[91:92], v[34:35], v[50:51]
	s_waitcnt vmcnt(7)
	;; [unrolled: 2-line block ×3, first 2 shown]
	v_mul_f64 v[97:98], v[42:43], v[62:63]
	v_mul_f64 v[50:51], v[32:33], v[50:51]
	s_waitcnt vmcnt(3)
	v_mul_f64 v[101:102], v[2:3], v[70:71]
	s_waitcnt vmcnt(2)
	v_mul_f64 v[103:104], v[18:19], v[74:75]
	v_mul_f64 v[70:71], v[0:1], v[70:71]
	s_waitcnt vmcnt(0)
	v_mul_f64 v[107:108], v[10:11], v[87:88]
	v_mul_f64 v[74:75], v[16:17], v[74:75]
	;; [unrolled: 1-line block ×11, first 2 shown]
	v_fma_f64 v[89:90], v[22:23], v[44:45], -v[89:90]
	v_fma_f64 v[44:45], v[20:21], v[44:45], v[46:47]
	v_fma_f64 v[32:33], v[32:33], v[48:49], v[91:92]
	;; [unrolled: 1-line block ×4, first 2 shown]
	v_fma_f64 v[34:35], v[34:35], v[48:49], -v[50:51]
	v_fma_f64 v[20:21], v[0:1], v[68:69], v[101:102]
	v_fma_f64 v[16:17], v[16:17], v[72:73], v[103:104]
	;; [unrolled: 1-line block ×3, first 2 shown]
	v_fma_f64 v[8:9], v[2:3], v[68:69], -v[70:71]
	v_fma_f64 v[18:19], v[18:19], v[72:73], -v[74:75]
	;; [unrolled: 1-line block ×4, first 2 shown]
	v_fma_f64 v[46:47], v[28:29], v[56:57], v[95:96]
	v_fma_f64 v[30:31], v[30:31], v[56:57], -v[58:59]
	v_fma_f64 v[28:29], v[42:43], v[60:61], -v[62:63]
	v_fma_f64 v[24:25], v[24:25], v[64:65], v[99:100]
	v_fma_f64 v[26:27], v[26:27], v[64:65], -v[66:67]
	v_fma_f64 v[4:5], v[4:5], v[76:77], v[105:106]
	v_fma_f64 v[6:7], v[6:7], v[76:77], -v[78:79]
	v_add_f64 v[10:11], v[14:15], v[89:90]
	v_add_f64 v[40:41], v[12:13], v[44:45]
	v_add_f64 v[42:43], v[32:33], -v[36:37]
	v_add_f64 v[74:75], v[32:33], v[36:37]
	v_add_f64 v[54:55], v[44:45], -v[0:1]
	;; [unrolled: 2-line block ×3, first 2 shown]
	v_add_f64 v[56:57], v[34:35], -v[38:39]
	v_add_f64 v[48:49], v[46:47], -v[22:23]
	v_add_f64 v[72:73], v[89:90], v[2:3]
	v_add_f64 v[58:59], v[30:31], -v[28:29]
	v_add_f64 v[50:51], v[24:25], -v[20:21]
	;; [unrolled: 1-line block ×3, first 2 shown]
	v_add_f64 v[78:79], v[24:25], v[20:21]
	v_add_f64 v[52:53], v[16:17], -v[4:5]
	v_add_f64 v[62:63], v[18:19], -v[6:7]
	v_add_f64 v[70:71], v[26:27], v[8:9]
	v_add_f64 v[68:69], v[30:31], v[28:29]
	;; [unrolled: 1-line block ×7, first 2 shown]
	v_mul_f64 v[105:106], v[42:43], s[20:21]
	v_add_f64 v[16:17], v[16:17], v[4:5]
	v_mul_f64 v[85:86], v[42:43], s[18:19]
	v_mul_f64 v[121:122], v[42:43], s[22:23]
	;; [unrolled: 1-line block ×14, first 2 shown]
	s_mov_b32 s21, 0xbfed1bb4
	v_mul_f64 v[139:140], v[64:65], s[18:19]
	v_mul_f64 v[159:160], v[64:65], s[20:21]
	;; [unrolled: 1-line block ×18, first 2 shown]
	v_add_f64 v[10:11], v[10:11], v[26:27]
	v_add_f64 v[24:25], v[40:41], v[24:25]
	v_mul_f64 v[40:41], v[54:55], s[22:23]
	v_mul_f64 v[54:55], v[54:55], s[20:21]
	v_mul_f64 v[26:27], v[52:53], s[30:31]
	v_mul_f64 v[107:108], v[48:49], s[26:27]
	v_mul_f64 v[113:114], v[58:59], s[26:27]
	v_mul_f64 v[123:124], v[48:49], s[28:29]
	v_mul_f64 v[143:144], v[48:49], s[30:31]
	v_fma_f64 v[165:166], v[72:73], s[4:5], v[93:94]
	v_fma_f64 v[93:94], v[72:73], s[4:5], -v[93:94]
	v_fma_f64 v[182:183], v[72:73], s[14:15], v[129:130]
	v_fma_f64 v[179:180], v[44:45], s[10:11], -v[119:120]
	;; [unrolled: 2-line block ×5, first 2 shown]
	v_mul_f64 v[151:152], v[58:59], s[30:31]
	v_fma_f64 v[184:185], v[44:45], s[14:15], -v[139:140]
	v_fma_f64 v[190:191], v[44:45], s[0:1], v[159:160]
	v_fma_f64 v[139:140], v[44:45], s[14:15], v[139:140]
	v_mul_f64 v[48:49], v[48:49], s[22:23]
	v_fma_f64 v[163:164], v[18:19], s[12:13], v[91:92]
	v_fma_f64 v[173:174], v[16:17], s[12:13], -v[101:102]
	v_fma_f64 v[91:92], v[18:19], s[12:13], -v[91:92]
	v_fma_f64 v[101:102], v[16:17], s[12:13], v[101:102]
	v_fma_f64 v[194:195], v[18:19], s[10:11], v[147:148]
	v_fma_f64 v[147:148], v[18:19], s[10:11], -v[147:148]
	v_fma_f64 v[192:193], v[16:17], s[4:5], -v[137:138]
	v_fma_f64 v[137:138], v[16:17], s[4:5], v[137:138]
	v_fma_f64 v[196:197], v[16:17], s[10:11], -v[155:156]
	v_fma_f64 v[155:156], v[16:17], s[10:11], v[155:156]
	v_fma_f64 v[161:162], v[70:71], s[10:11], v[89:90]
	v_fma_f64 v[171:172], v[78:79], s[10:11], -v[99:100]
	v_fma_f64 v[89:90], v[70:71], s[10:11], -v[89:90]
	v_fma_f64 v[99:100], v[78:79], s[10:11], v[99:100]
	v_add_f64 v[10:11], v[10:11], v[30:31]
	v_add_f64 v[24:25], v[24:25], v[46:47]
	v_fma_f64 v[177:178], v[72:73], s[10:11], v[40:41]
	v_fma_f64 v[40:41], v[72:73], s[10:11], -v[40:41]
	v_mul_f64 v[30:31], v[52:53], s[20:21]
	v_mul_f64 v[46:47], v[62:63], s[20:21]
	v_fma_f64 v[188:189], v[72:73], s[0:1], -v[54:55]
	v_fma_f64 v[54:55], v[72:73], s[0:1], v[54:55]
	v_fma_f64 v[72:73], v[44:45], s[0:1], -v[159:160]
	v_fma_f64 v[159:160], v[18:19], s[4:5], v[127:128]
	v_fma_f64 v[127:128], v[18:19], s[4:5], -v[127:128]
	v_add_f64 v[93:94], v[14:15], v[93:94]
	v_fma_f64 v[202:203], v[70:71], s[14:15], v[50:51]
	v_add_f64 v[119:120], v[12:13], v[119:120]
	v_fma_f64 v[204:205], v[78:79], s[14:15], -v[60:61]
	v_add_f64 v[103:104], v[12:13], v[103:104]
	v_add_f64 v[129:130], v[14:15], v[129:130]
	v_fma_f64 v[50:51], v[70:71], s[14:15], -v[50:51]
	v_add_f64 v[157:158], v[14:15], v[157:158]
	v_fma_f64 v[60:61], v[78:79], s[14:15], v[60:61]
	v_mul_f64 v[133:134], v[58:59], s[28:29]
	v_mul_f64 v[58:59], v[58:59], s[22:23]
	v_add_f64 v[139:140], v[12:13], v[139:140]
	v_mul_f64 v[95:96], v[56:57], s[18:19]
	v_fma_f64 v[62:63], v[68:69], s[0:1], v[87:88]
	v_fma_f64 v[169:170], v[76:77], s[0:1], -v[97:98]
	v_fma_f64 v[87:88], v[68:69], s[0:1], -v[87:88]
	v_fma_f64 v[97:98], v[76:77], s[0:1], v[97:98]
	v_mul_f64 v[131:132], v[56:57], s[22:23]
	v_mul_f64 v[149:150], v[56:57], s[24:25]
	v_mul_f64 v[56:57], v[56:57], s[26:27]
	v_fma_f64 v[52:53], v[66:67], s[14:15], v[85:86]
	v_fma_f64 v[85:86], v[66:67], s[14:15], -v[85:86]
	v_add_f64 v[10:11], v[10:11], v[34:35]
	v_add_f64 v[24:25], v[24:25], v[32:33]
	v_fma_f64 v[32:33], v[44:45], s[12:13], v[64:65]
	v_fma_f64 v[34:35], v[44:45], s[12:13], -v[64:65]
	v_fma_f64 v[44:45], v[18:19], s[14:15], v[26:27]
	v_fma_f64 v[64:65], v[16:17], s[14:15], -v[117:118]
	v_fma_f64 v[26:27], v[18:19], s[14:15], -v[26:27]
	v_fma_f64 v[117:118], v[16:17], s[14:15], v[117:118]
	v_add_f64 v[40:41], v[14:15], v[40:41]
	v_fma_f64 v[198:199], v[18:19], s[0:1], v[30:31]
	v_fma_f64 v[18:19], v[18:19], s[0:1], -v[30:31]
	v_add_f64 v[30:31], v[14:15], v[165:166]
	v_fma_f64 v[200:201], v[16:17], s[0:1], -v[46:47]
	v_fma_f64 v[16:17], v[16:17], s[0:1], v[46:47]
	v_add_f64 v[46:47], v[12:13], v[175:176]
	v_add_f64 v[165:166], v[14:15], v[177:178]
	v_add_f64 v[175:176], v[12:13], v[179:180]
	v_add_f64 v[177:178], v[14:15], v[182:183]
	v_add_f64 v[179:180], v[12:13], v[184:185]
	v_add_f64 v[182:183], v[14:15], v[186:187]
	v_add_f64 v[184:185], v[14:15], v[188:189]
	v_add_f64 v[186:187], v[12:13], v[190:191]
	v_add_f64 v[14:15], v[14:15], v[54:55]
	v_add_f64 v[54:55], v[12:13], v[72:73]
	v_fma_f64 v[72:73], v[78:79], s[12:13], v[115:116]
	v_fma_f64 v[188:189], v[70:71], s[4:5], v[145:146]
	v_fma_f64 v[190:191], v[78:79], s[4:5], -v[153:154]
	v_fma_f64 v[145:146], v[70:71], s[4:5], -v[145:146]
	v_fma_f64 v[153:154], v[78:79], s[4:5], v[153:154]
	v_fma_f64 v[167:168], v[74:75], s[14:15], -v[95:96]
	v_fma_f64 v[95:96], v[74:75], s[14:15], v[95:96]
	v_add_f64 v[10:11], v[10:11], v[38:39]
	v_add_f64 v[24:25], v[24:25], v[36:37]
	;; [unrolled: 1-line block ×4, first 2 shown]
	v_fma_f64 v[38:39], v[70:71], s[12:13], -v[109:110]
	v_fma_f64 v[34:35], v[70:71], s[12:13], v[109:110]
	v_fma_f64 v[36:37], v[78:79], s[12:13], -v[115:116]
	v_fma_f64 v[109:110], v[70:71], s[0:1], v[125:126]
	v_add_f64 v[26:27], v[26:27], v[40:41]
	v_add_f64 v[40:41], v[117:118], v[119:120]
	v_fma_f64 v[115:116], v[78:79], s[0:1], -v[135:136]
	v_fma_f64 v[125:126], v[70:71], s[0:1], -v[125:126]
	v_fma_f64 v[135:136], v[78:79], s[0:1], v[135:136]
	v_add_f64 v[30:31], v[163:164], v[30:31]
	v_add_f64 v[70:71], v[91:92], v[93:94]
	;; [unrolled: 1-line block ×16, first 2 shown]
	v_fma_f64 v[137:138], v[68:69], s[14:15], v[143:144]
	v_fma_f64 v[139:140], v[76:77], s[14:15], -v[151:152]
	v_fma_f64 v[143:144], v[68:69], s[14:15], -v[143:144]
	v_fma_f64 v[147:148], v[76:77], s[14:15], v[151:152]
	v_fma_f64 v[151:152], v[68:69], s[10:11], v[48:49]
	v_fma_f64 v[48:49], v[68:69], s[10:11], -v[48:49]
	v_fma_f64 v[129:130], v[76:77], s[12:13], -v[133:134]
	v_fma_f64 v[133:134], v[76:77], s[12:13], v[133:134]
	v_fma_f64 v[155:156], v[76:77], s[10:11], -v[58:59]
	v_add_f64 v[10:11], v[10:11], v[28:29]
	v_add_f64 v[22:23], v[24:25], v[22:23]
	;; [unrolled: 1-line block ×4, first 2 shown]
	v_fma_f64 v[24:25], v[68:69], s[4:5], v[107:108]
	v_fma_f64 v[32:33], v[68:69], s[4:5], -v[107:108]
	v_fma_f64 v[107:108], v[76:77], s[4:5], v[113:114]
	v_fma_f64 v[28:29], v[76:77], s[4:5], -v[113:114]
	v_add_f64 v[26:27], v[38:39], v[26:27]
	v_add_f64 v[38:39], v[72:73], v[40:41]
	v_fma_f64 v[113:114], v[68:69], s[12:13], v[123:124]
	v_fma_f64 v[123:124], v[68:69], s[12:13], -v[123:124]
	v_fma_f64 v[58:59], v[76:77], s[10:11], v[58:59]
	v_add_f64 v[30:31], v[161:162], v[30:31]
	v_add_f64 v[68:69], v[89:90], v[70:71]
	;; [unrolled: 1-line block ×16, first 2 shown]
	v_fma_f64 v[89:90], v[74:75], s[0:1], v[111:112]
	v_fma_f64 v[91:92], v[66:67], s[10:11], v[121:122]
	v_fma_f64 v[99:100], v[66:67], s[10:11], -v[121:122]
	v_fma_f64 v[103:104], v[66:67], s[12:13], v[141:142]
	v_fma_f64 v[109:110], v[66:67], s[12:13], -v[141:142]
	;; [unrolled: 2-line block ×3, first 2 shown]
	v_fma_f64 v[93:94], v[74:75], s[10:11], -v[131:132]
	v_fma_f64 v[101:102], v[74:75], s[10:11], v[131:132]
	v_add_f64 v[8:9], v[10:11], v[8:9]
	v_add_f64 v[10:11], v[22:23], v[20:21]
	;; [unrolled: 1-line block ×4, first 2 shown]
	v_fma_f64 v[60:61], v[66:67], s[0:1], -v[105:106]
	v_fma_f64 v[20:21], v[66:67], s[0:1], v[105:106]
	v_fma_f64 v[22:23], v[74:75], s[0:1], -v[111:112]
	v_fma_f64 v[111:112], v[74:75], s[12:13], v[149:150]
	v_add_f64 v[26:27], v[32:33], v[26:27]
	v_add_f64 v[32:33], v[107:108], v[38:39]
	v_fma_f64 v[105:106], v[74:75], s[12:13], -v[149:150]
	v_fma_f64 v[117:118], v[74:75], s[4:5], -v[56:57]
	v_fma_f64 v[56:57], v[74:75], s[4:5], v[56:57]
	v_add_f64 v[30:31], v[62:63], v[30:31]
	v_add_f64 v[62:63], v[87:88], v[68:69]
	;; [unrolled: 1-line block ×42, first 2 shown]
	ds_store_b128 v181, v[16:19] offset:8704
	ds_store_b128 v181, v[8:11] offset:10880
	;; [unrolled: 1-line block ×8, first 2 shown]
	ds_store_b128 v181, v[0:3]
	ds_store_b128 v181, v[32:35] offset:2176
	ds_store_b128 v181, v[28:31] offset:21760
.LBB0_19:
	s_or_b32 exec_lo, exec_lo, s16
	s_waitcnt lgkmcnt(0)
	s_barrier
	buffer_gl0_inv
	ds_load_b128 v[4:7], v181
	v_lshlrev_b32_e32 v0, 4, v84
	s_add_u32 s1, s8, 0x5c70
	s_addc_u32 s4, s9, 0
	s_mov_b32 s5, exec_lo
                                        ; implicit-def: $vgpr8_vgpr9
                                        ; implicit-def: $vgpr10_vgpr11
                                        ; implicit-def: $vgpr12_vgpr13
	s_delay_alu instid0(VALU_DEP_1)
	v_sub_nc_u32_e32 v14, 0, v0
                                        ; implicit-def: $vgpr0_vgpr1
	v_cmpx_ne_u32_e32 0, v84
	s_xor_b32 s5, exec_lo, s5
	s_cbranch_execz .LBB0_21
; %bb.20:
	v_mov_b32_e32 v85, 0
	s_delay_alu instid0(VALU_DEP_1) | instskip(NEXT) | instid1(VALU_DEP_1)
	v_lshlrev_b64 v[0:1], 4, v[84:85]
	v_add_co_u32 v0, s0, s1, v0
	s_delay_alu instid0(VALU_DEP_1)
	v_add_co_ci_u32_e64 v1, s0, s4, v1, s0
	global_load_b128 v[15:18], v[0:1], off
	ds_load_b128 v[0:3], v14 offset:23936
	s_waitcnt lgkmcnt(0)
	v_add_f64 v[8:9], v[4:5], -v[0:1]
	v_add_f64 v[10:11], v[6:7], v[2:3]
	v_add_f64 v[2:3], v[6:7], -v[2:3]
	v_add_f64 v[0:1], v[4:5], v[0:1]
	s_delay_alu instid0(VALU_DEP_4) | instskip(NEXT) | instid1(VALU_DEP_4)
	v_mul_f64 v[6:7], v[8:9], 0.5
	v_mul_f64 v[4:5], v[10:11], 0.5
	s_delay_alu instid0(VALU_DEP_4) | instskip(SKIP_1) | instid1(VALU_DEP_3)
	v_mul_f64 v[2:3], v[2:3], 0.5
	s_waitcnt vmcnt(0)
	v_mul_f64 v[8:9], v[6:7], v[17:18]
	s_delay_alu instid0(VALU_DEP_2) | instskip(SKIP_1) | instid1(VALU_DEP_3)
	v_fma_f64 v[10:11], v[4:5], v[17:18], v[2:3]
	v_fma_f64 v[2:3], v[4:5], v[17:18], -v[2:3]
	v_fma_f64 v[12:13], v[0:1], 0.5, v[8:9]
	v_fma_f64 v[0:1], v[0:1], 0.5, -v[8:9]
	s_delay_alu instid0(VALU_DEP_4) | instskip(NEXT) | instid1(VALU_DEP_4)
	v_fma_f64 v[10:11], -v[15:16], v[6:7], v[10:11]
	v_fma_f64 v[2:3], -v[15:16], v[6:7], v[2:3]
	s_delay_alu instid0(VALU_DEP_4) | instskip(NEXT) | instid1(VALU_DEP_4)
	v_fma_f64 v[8:9], v[4:5], v[15:16], v[12:13]
	v_fma_f64 v[0:1], -v[4:5], v[15:16], v[0:1]
	v_dual_mov_b32 v12, v84 :: v_dual_mov_b32 v13, v85
                                        ; implicit-def: $vgpr4_vgpr5
.LBB0_21:
	s_and_not1_saveexec_b32 s0, s5
	s_cbranch_execz .LBB0_23
; %bb.22:
	s_waitcnt lgkmcnt(0)
	v_add_f64 v[8:9], v[4:5], v[6:7]
	v_add_f64 v[0:1], v[4:5], -v[6:7]
	v_mov_b32_e32 v6, 0
	v_mov_b32_e32 v10, 0
	v_dual_mov_b32 v11, 0 :: v_dual_mov_b32 v12, 0
	s_delay_alu instid0(VALU_DEP_2)
	v_mov_b32_e32 v2, v10
	ds_load_b64 v[4:5], v6 offset:11976
	v_mov_b32_e32 v13, 0
	v_mov_b32_e32 v3, v11
	s_waitcnt lgkmcnt(0)
	v_xor_b32_e32 v5, 0x80000000, v5
	ds_store_b64 v6, v[4:5] offset:11976
.LBB0_23:
	s_or_b32 exec_lo, exec_lo, s0
	s_waitcnt lgkmcnt(0)
	v_lshlrev_b64 v[4:5], 4, v[12:13]
	s_delay_alu instid0(VALU_DEP_1) | instskip(NEXT) | instid1(VALU_DEP_1)
	v_add_co_u32 v12, s0, s1, v4
	v_add_co_ci_u32_e64 v13, s0, s4, v5, s0
	s_delay_alu instid0(VALU_DEP_2)
	v_add_co_u32 v15, s0, 0x1000, v12
	global_load_b128 v[4:7], v[12:13], off offset:2992
	v_add_co_ci_u32_e64 v16, s0, 0, v13, s0
	global_load_b128 v[15:18], v[15:16], off offset:1888
	ds_store_2addr_b64 v181, v[8:9], v[10:11] offset1:1
	ds_store_b128 v14, v[0:3] offset:23936
	ds_load_b128 v[0:3], v181 offset:2992
	ds_load_b128 v[8:11], v14 offset:20944
	s_waitcnt lgkmcnt(0)
	v_add_f64 v[19:20], v[0:1], -v[8:9]
	v_add_f64 v[21:22], v[2:3], v[10:11]
	v_add_f64 v[2:3], v[2:3], -v[10:11]
	v_add_f64 v[0:1], v[0:1], v[8:9]
	s_delay_alu instid0(VALU_DEP_4) | instskip(NEXT) | instid1(VALU_DEP_4)
	v_mul_f64 v[10:11], v[19:20], 0.5
	v_mul_f64 v[19:20], v[21:22], 0.5
	s_delay_alu instid0(VALU_DEP_4) | instskip(SKIP_1) | instid1(VALU_DEP_3)
	v_mul_f64 v[2:3], v[2:3], 0.5
	s_waitcnt vmcnt(1)
	v_mul_f64 v[8:9], v[10:11], v[6:7]
	s_delay_alu instid0(VALU_DEP_2) | instskip(SKIP_1) | instid1(VALU_DEP_3)
	v_fma_f64 v[21:22], v[19:20], v[6:7], v[2:3]
	v_fma_f64 v[2:3], v[19:20], v[6:7], -v[2:3]
	v_fma_f64 v[6:7], v[0:1], 0.5, v[8:9]
	v_fma_f64 v[0:1], v[0:1], 0.5, -v[8:9]
	s_delay_alu instid0(VALU_DEP_4) | instskip(NEXT) | instid1(VALU_DEP_4)
	v_fma_f64 v[8:9], -v[4:5], v[10:11], v[21:22]
	v_fma_f64 v[2:3], -v[4:5], v[10:11], v[2:3]
	s_delay_alu instid0(VALU_DEP_4) | instskip(NEXT) | instid1(VALU_DEP_4)
	v_fma_f64 v[10:11], v[19:20], v[4:5], v[6:7]
	v_fma_f64 v[0:1], -v[19:20], v[4:5], v[0:1]
	v_add_co_u32 v4, s0, 0x2000, v12
	s_delay_alu instid0(VALU_DEP_1)
	v_add_co_ci_u32_e64 v5, s0, 0, v13, s0
	v_add_nc_u32_e32 v12, 0x800, v181
	global_load_b128 v[4:7], v[4:5], off offset:784
	ds_store_2addr_b64 v12, v[10:11], v[8:9] offset0:118 offset1:119
	ds_store_b128 v14, v[0:3] offset:20944
	ds_load_b128 v[0:3], v181 offset:5984
	ds_load_b128 v[8:11], v14 offset:17952
	s_waitcnt lgkmcnt(0)
	v_add_f64 v[12:13], v[0:1], -v[8:9]
	v_add_f64 v[19:20], v[2:3], v[10:11]
	v_add_f64 v[2:3], v[2:3], -v[10:11]
	v_add_f64 v[0:1], v[0:1], v[8:9]
	s_delay_alu instid0(VALU_DEP_4) | instskip(NEXT) | instid1(VALU_DEP_4)
	v_mul_f64 v[10:11], v[12:13], 0.5
	v_mul_f64 v[12:13], v[19:20], 0.5
	s_delay_alu instid0(VALU_DEP_4) | instskip(SKIP_1) | instid1(VALU_DEP_3)
	v_mul_f64 v[2:3], v[2:3], 0.5
	s_waitcnt vmcnt(1)
	v_mul_f64 v[8:9], v[10:11], v[17:18]
	s_delay_alu instid0(VALU_DEP_2) | instskip(SKIP_1) | instid1(VALU_DEP_3)
	v_fma_f64 v[19:20], v[12:13], v[17:18], v[2:3]
	v_fma_f64 v[2:3], v[12:13], v[17:18], -v[2:3]
	v_fma_f64 v[17:18], v[0:1], 0.5, v[8:9]
	v_fma_f64 v[0:1], v[0:1], 0.5, -v[8:9]
	s_delay_alu instid0(VALU_DEP_4) | instskip(NEXT) | instid1(VALU_DEP_4)
	v_fma_f64 v[8:9], -v[15:16], v[10:11], v[19:20]
	v_fma_f64 v[2:3], -v[15:16], v[10:11], v[2:3]
	s_delay_alu instid0(VALU_DEP_4) | instskip(NEXT) | instid1(VALU_DEP_4)
	v_fma_f64 v[10:11], v[12:13], v[15:16], v[17:18]
	v_fma_f64 v[0:1], -v[12:13], v[15:16], v[0:1]
	v_add_nc_u32_e32 v12, 0x1000, v181
	ds_store_2addr_b64 v12, v[10:11], v[8:9] offset0:236 offset1:237
	ds_store_b128 v14, v[0:3] offset:17952
	ds_load_b128 v[0:3], v181 offset:8976
	ds_load_b128 v[8:11], v14 offset:14960
	s_waitcnt lgkmcnt(0)
	v_add_f64 v[12:13], v[0:1], -v[8:9]
	v_add_f64 v[15:16], v[2:3], v[10:11]
	v_add_f64 v[2:3], v[2:3], -v[10:11]
	v_add_f64 v[0:1], v[0:1], v[8:9]
	s_delay_alu instid0(VALU_DEP_4) | instskip(NEXT) | instid1(VALU_DEP_4)
	v_mul_f64 v[10:11], v[12:13], 0.5
	v_mul_f64 v[12:13], v[15:16], 0.5
	s_delay_alu instid0(VALU_DEP_4) | instskip(SKIP_1) | instid1(VALU_DEP_3)
	v_mul_f64 v[2:3], v[2:3], 0.5
	s_waitcnt vmcnt(0)
	v_mul_f64 v[8:9], v[10:11], v[6:7]
	s_delay_alu instid0(VALU_DEP_2) | instskip(SKIP_1) | instid1(VALU_DEP_3)
	v_fma_f64 v[15:16], v[12:13], v[6:7], v[2:3]
	v_fma_f64 v[2:3], v[12:13], v[6:7], -v[2:3]
	v_fma_f64 v[6:7], v[0:1], 0.5, v[8:9]
	v_fma_f64 v[0:1], v[0:1], 0.5, -v[8:9]
	s_delay_alu instid0(VALU_DEP_4) | instskip(NEXT) | instid1(VALU_DEP_4)
	v_fma_f64 v[8:9], -v[4:5], v[10:11], v[15:16]
	v_fma_f64 v[2:3], -v[4:5], v[10:11], v[2:3]
	s_delay_alu instid0(VALU_DEP_4) | instskip(NEXT) | instid1(VALU_DEP_4)
	v_fma_f64 v[6:7], v[12:13], v[4:5], v[6:7]
	v_fma_f64 v[0:1], -v[12:13], v[4:5], v[0:1]
	v_add_nc_u32_e32 v4, 0x2000, v181
	ds_store_2addr_b64 v4, v[6:7], v[8:9] offset0:98 offset1:99
	ds_store_b128 v14, v[0:3] offset:14960
	s_waitcnt lgkmcnt(0)
	s_barrier
	buffer_gl0_inv
	s_and_saveexec_b32 s0, vcc_lo
	s_cbranch_execz .LBB0_26
; %bb.24:
	v_mul_lo_u32 v2, s3, v82
	v_mul_lo_u32 v3, s2, v83
	v_mad_u64_u32 v[0:1], null, s2, v82, 0
	v_dual_mov_b32 v85, 0 :: v_dual_add_nc_u32 v12, 0xbb, v84
	v_lshlrev_b64 v[10:11], 4, v[80:81]
	v_lshl_add_u32 v28, v84, 4, 0
	s_delay_alu instid0(VALU_DEP_3)
	v_dual_mov_b32 v13, v85 :: v_dual_add_nc_u32 v14, 0x176, v84
	v_add3_u32 v1, v1, v3, v2
	v_lshlrev_b64 v[16:17], 4, v[84:85]
	v_dual_mov_b32 v15, v85 :: v_dual_add_nc_u32 v24, 0x231, v84
	ds_load_b128 v[2:5], v28
	ds_load_b128 v[6:9], v28 offset:2992
	v_lshlrev_b64 v[0:1], 4, v[0:1]
	v_lshlrev_b64 v[18:19], 4, v[12:13]
	;; [unrolled: 1-line block ×3, first 2 shown]
	v_dual_mov_b32 v25, v85 :: v_dual_add_nc_u32 v26, 0x2ec, v84
	v_mov_b32_e32 v27, v85
	v_add_co_u32 v0, vcc_lo, s6, v0
	v_add_co_ci_u32_e32 v1, vcc_lo, s7, v1, vcc_lo
	s_delay_alu instid0(VALU_DEP_4) | instskip(NEXT) | instid1(VALU_DEP_3)
	v_lshlrev_b64 v[24:25], 4, v[24:25]
	v_add_co_u32 v0, vcc_lo, v0, v10
	s_delay_alu instid0(VALU_DEP_3) | instskip(NEXT) | instid1(VALU_DEP_2)
	v_add_co_ci_u32_e32 v1, vcc_lo, v1, v11, vcc_lo
	v_add_co_u32 v22, vcc_lo, v0, v16
	s_delay_alu instid0(VALU_DEP_2)
	v_add_co_ci_u32_e32 v23, vcc_lo, v1, v17, vcc_lo
	ds_load_b128 v[10:13], v28 offset:5984
	ds_load_b128 v[14:17], v28 offset:8976
	v_add_co_u32 v18, vcc_lo, v0, v18
	v_add_co_ci_u32_e32 v19, vcc_lo, v1, v19, vcc_lo
	v_add_co_u32 v20, vcc_lo, v0, v20
	v_add_co_ci_u32_e32 v21, vcc_lo, v1, v21, vcc_lo
	;; [unrolled: 2-line block ×3, first 2 shown]
	s_waitcnt lgkmcnt(3)
	global_store_b128 v[22:23], v[2:5], off
	s_waitcnt lgkmcnt(2)
	global_store_b128 v[18:19], v[6:9], off
	;; [unrolled: 2-line block ×4, first 2 shown]
	v_add_nc_u32_e32 v10, 0x3a7, v84
	v_lshlrev_b64 v[2:3], 4, v[26:27]
	v_dual_mov_b32 v11, v85 :: v_dual_add_nc_u32 v12, 0x462, v84
	v_dual_mov_b32 v13, v85 :: v_dual_add_nc_u32 v24, 0x51d, v84
	v_mov_b32_e32 v25, v85
	s_delay_alu instid0(VALU_DEP_4)
	v_add_co_u32 v18, vcc_lo, v0, v2
	v_add_co_ci_u32_e32 v19, vcc_lo, v1, v3, vcc_lo
	ds_load_b128 v[2:5], v28 offset:11968
	ds_load_b128 v[6:9], v28 offset:14960
	v_lshlrev_b64 v[20:21], 4, v[10:11]
	v_lshlrev_b64 v[22:23], 4, v[12:13]
	ds_load_b128 v[10:13], v28 offset:17952
	ds_load_b128 v[14:17], v28 offset:20944
	v_lshlrev_b64 v[24:25], 4, v[24:25]
	v_add_co_u32 v20, vcc_lo, v0, v20
	v_add_co_ci_u32_e32 v21, vcc_lo, v1, v21, vcc_lo
	v_add_co_u32 v22, vcc_lo, v0, v22
	v_add_co_ci_u32_e32 v23, vcc_lo, v1, v23, vcc_lo
	;; [unrolled: 2-line block ×3, first 2 shown]
	v_cmp_eq_u32_e32 vcc_lo, 0xba, v84
	s_waitcnt lgkmcnt(3)
	global_store_b128 v[18:19], v[2:5], off
	s_waitcnt lgkmcnt(2)
	global_store_b128 v[20:21], v[6:9], off
	;; [unrolled: 2-line block ×4, first 2 shown]
	s_and_b32 exec_lo, exec_lo, vcc_lo
	s_cbranch_execz .LBB0_26
; %bb.25:
	ds_load_b128 v[2:5], v85 offset:23936
	v_add_co_u32 v0, vcc_lo, 0x5000, v0
	v_add_co_ci_u32_e32 v1, vcc_lo, 0, v1, vcc_lo
	s_waitcnt lgkmcnt(0)
	global_store_b128 v[0:1], v[2:5], off offset:3456
.LBB0_26:
	s_nop 0
	s_sendmsg sendmsg(MSG_DEALLOC_VGPRS)
	s_endpgm
	.section	.rodata,"a",@progbits
	.p2align	6, 0x0
	.amdhsa_kernel fft_rtc_back_len1496_factors_17_8_11_wgs_187_tpt_187_halfLds_dp_op_CI_CI_unitstride_sbrr_R2C_dirReg
		.amdhsa_group_segment_fixed_size 0
		.amdhsa_private_segment_fixed_size 0
		.amdhsa_kernarg_size 104
		.amdhsa_user_sgpr_count 15
		.amdhsa_user_sgpr_dispatch_ptr 0
		.amdhsa_user_sgpr_queue_ptr 0
		.amdhsa_user_sgpr_kernarg_segment_ptr 1
		.amdhsa_user_sgpr_dispatch_id 0
		.amdhsa_user_sgpr_private_segment_size 0
		.amdhsa_wavefront_size32 1
		.amdhsa_uses_dynamic_stack 0
		.amdhsa_enable_private_segment 0
		.amdhsa_system_sgpr_workgroup_id_x 1
		.amdhsa_system_sgpr_workgroup_id_y 0
		.amdhsa_system_sgpr_workgroup_id_z 0
		.amdhsa_system_sgpr_workgroup_info 0
		.amdhsa_system_vgpr_workitem_id 0
		.amdhsa_next_free_vgpr 216
		.amdhsa_next_free_sgpr 58
		.amdhsa_reserve_vcc 1
		.amdhsa_float_round_mode_32 0
		.amdhsa_float_round_mode_16_64 0
		.amdhsa_float_denorm_mode_32 3
		.amdhsa_float_denorm_mode_16_64 3
		.amdhsa_dx10_clamp 1
		.amdhsa_ieee_mode 1
		.amdhsa_fp16_overflow 0
		.amdhsa_workgroup_processor_mode 1
		.amdhsa_memory_ordered 1
		.amdhsa_forward_progress 0
		.amdhsa_shared_vgpr_count 0
		.amdhsa_exception_fp_ieee_invalid_op 0
		.amdhsa_exception_fp_denorm_src 0
		.amdhsa_exception_fp_ieee_div_zero 0
		.amdhsa_exception_fp_ieee_overflow 0
		.amdhsa_exception_fp_ieee_underflow 0
		.amdhsa_exception_fp_ieee_inexact 0
		.amdhsa_exception_int_div_zero 0
	.end_amdhsa_kernel
	.text
.Lfunc_end0:
	.size	fft_rtc_back_len1496_factors_17_8_11_wgs_187_tpt_187_halfLds_dp_op_CI_CI_unitstride_sbrr_R2C_dirReg, .Lfunc_end0-fft_rtc_back_len1496_factors_17_8_11_wgs_187_tpt_187_halfLds_dp_op_CI_CI_unitstride_sbrr_R2C_dirReg
                                        ; -- End function
	.section	.AMDGPU.csdata,"",@progbits
; Kernel info:
; codeLenInByte = 14660
; NumSgprs: 60
; NumVgprs: 216
; ScratchSize: 0
; MemoryBound: 0
; FloatMode: 240
; IeeeMode: 1
; LDSByteSize: 0 bytes/workgroup (compile time only)
; SGPRBlocks: 7
; VGPRBlocks: 26
; NumSGPRsForWavesPerEU: 60
; NumVGPRsForWavesPerEU: 216
; Occupancy: 7
; WaveLimiterHint : 1
; COMPUTE_PGM_RSRC2:SCRATCH_EN: 0
; COMPUTE_PGM_RSRC2:USER_SGPR: 15
; COMPUTE_PGM_RSRC2:TRAP_HANDLER: 0
; COMPUTE_PGM_RSRC2:TGID_X_EN: 1
; COMPUTE_PGM_RSRC2:TGID_Y_EN: 0
; COMPUTE_PGM_RSRC2:TGID_Z_EN: 0
; COMPUTE_PGM_RSRC2:TIDIG_COMP_CNT: 0
	.text
	.p2alignl 7, 3214868480
	.fill 96, 4, 3214868480
	.type	__hip_cuid_b2b41523db50c63,@object ; @__hip_cuid_b2b41523db50c63
	.section	.bss,"aw",@nobits
	.globl	__hip_cuid_b2b41523db50c63
__hip_cuid_b2b41523db50c63:
	.byte	0                               ; 0x0
	.size	__hip_cuid_b2b41523db50c63, 1

	.ident	"AMD clang version 19.0.0git (https://github.com/RadeonOpenCompute/llvm-project roc-6.4.0 25133 c7fe45cf4b819c5991fe208aaa96edf142730f1d)"
	.section	".note.GNU-stack","",@progbits
	.addrsig
	.addrsig_sym __hip_cuid_b2b41523db50c63
	.amdgpu_metadata
---
amdhsa.kernels:
  - .args:
      - .actual_access:  read_only
        .address_space:  global
        .offset:         0
        .size:           8
        .value_kind:     global_buffer
      - .offset:         8
        .size:           8
        .value_kind:     by_value
      - .actual_access:  read_only
        .address_space:  global
        .offset:         16
        .size:           8
        .value_kind:     global_buffer
      - .actual_access:  read_only
        .address_space:  global
        .offset:         24
        .size:           8
        .value_kind:     global_buffer
      - .actual_access:  read_only
        .address_space:  global
        .offset:         32
        .size:           8
        .value_kind:     global_buffer
      - .offset:         40
        .size:           8
        .value_kind:     by_value
      - .actual_access:  read_only
        .address_space:  global
        .offset:         48
        .size:           8
        .value_kind:     global_buffer
      - .actual_access:  read_only
        .address_space:  global
        .offset:         56
        .size:           8
        .value_kind:     global_buffer
      - .offset:         64
        .size:           4
        .value_kind:     by_value
      - .actual_access:  read_only
        .address_space:  global
        .offset:         72
        .size:           8
        .value_kind:     global_buffer
      - .actual_access:  read_only
        .address_space:  global
        .offset:         80
        .size:           8
        .value_kind:     global_buffer
      - .actual_access:  read_only
        .address_space:  global
        .offset:         88
        .size:           8
        .value_kind:     global_buffer
      - .actual_access:  write_only
        .address_space:  global
        .offset:         96
        .size:           8
        .value_kind:     global_buffer
    .group_segment_fixed_size: 0
    .kernarg_segment_align: 8
    .kernarg_segment_size: 104
    .language:       OpenCL C
    .language_version:
      - 2
      - 0
    .max_flat_workgroup_size: 187
    .name:           fft_rtc_back_len1496_factors_17_8_11_wgs_187_tpt_187_halfLds_dp_op_CI_CI_unitstride_sbrr_R2C_dirReg
    .private_segment_fixed_size: 0
    .sgpr_count:     60
    .sgpr_spill_count: 0
    .symbol:         fft_rtc_back_len1496_factors_17_8_11_wgs_187_tpt_187_halfLds_dp_op_CI_CI_unitstride_sbrr_R2C_dirReg.kd
    .uniform_work_group_size: 1
    .uses_dynamic_stack: false
    .vgpr_count:     216
    .vgpr_spill_count: 0
    .wavefront_size: 32
    .workgroup_processor_mode: 1
amdhsa.target:   amdgcn-amd-amdhsa--gfx1100
amdhsa.version:
  - 1
  - 2
...

	.end_amdgpu_metadata
